;; amdgpu-corpus repo=ROCm/rocFFT kind=compiled arch=gfx950 opt=O3
	.text
	.amdgcn_target "amdgcn-amd-amdhsa--gfx950"
	.amdhsa_code_object_version 6
	.protected	fft_rtc_back_len2700_factors_3_10_10_3_3_wgs_90_tpt_90_halfLds_sp_op_CI_CI_unitstride_sbrr_C2R_dirReg ; -- Begin function fft_rtc_back_len2700_factors_3_10_10_3_3_wgs_90_tpt_90_halfLds_sp_op_CI_CI_unitstride_sbrr_C2R_dirReg
	.globl	fft_rtc_back_len2700_factors_3_10_10_3_3_wgs_90_tpt_90_halfLds_sp_op_CI_CI_unitstride_sbrr_C2R_dirReg
	.p2align	8
	.type	fft_rtc_back_len2700_factors_3_10_10_3_3_wgs_90_tpt_90_halfLds_sp_op_CI_CI_unitstride_sbrr_C2R_dirReg,@function
fft_rtc_back_len2700_factors_3_10_10_3_3_wgs_90_tpt_90_halfLds_sp_op_CI_CI_unitstride_sbrr_C2R_dirReg: ; @fft_rtc_back_len2700_factors_3_10_10_3_3_wgs_90_tpt_90_halfLds_sp_op_CI_CI_unitstride_sbrr_C2R_dirReg
; %bb.0:
	s_load_dwordx4 s[4:7], s[0:1], 0x58
	s_load_dwordx4 s[8:11], s[0:1], 0x0
	;; [unrolled: 1-line block ×3, first 2 shown]
	v_mul_u32_u24_e32 v1, 0x2d9, v0
	v_add_u32_sdwa v6, s2, v1 dst_sel:DWORD dst_unused:UNUSED_PAD src0_sel:DWORD src1_sel:WORD_1
	v_mov_b32_e32 v4, 0
	s_waitcnt lgkmcnt(0)
	v_cmp_lt_u64_e64 s[2:3], s[10:11], 2
	v_mov_b32_e32 v7, v4
	s_and_b64 vcc, exec, s[2:3]
	v_mov_b64_e32 v[2:3], 0
	s_cbranch_vccnz .LBB0_8
; %bb.1:
	s_load_dwordx2 s[2:3], s[0:1], 0x10
	s_add_u32 s16, s14, 8
	s_addc_u32 s17, s15, 0
	s_add_u32 s18, s12, 8
	s_addc_u32 s19, s13, 0
	s_waitcnt lgkmcnt(0)
	s_add_u32 s20, s2, 8
	v_mov_b64_e32 v[2:3], 0
	s_addc_u32 s21, s3, 0
	s_mov_b64 s[22:23], 1
	v_mov_b64_e32 v[16:17], v[2:3]
.LBB0_2:                                ; =>This Inner Loop Header: Depth=1
	s_load_dwordx2 s[24:25], s[20:21], 0x0
                                        ; implicit-def: $vgpr20_vgpr21
	s_waitcnt lgkmcnt(0)
	v_or_b32_e32 v5, s25, v7
	v_cmp_ne_u64_e32 vcc, 0, v[4:5]
	s_and_saveexec_b64 s[2:3], vcc
	s_xor_b64 s[26:27], exec, s[2:3]
	s_cbranch_execz .LBB0_4
; %bb.3:                                ;   in Loop: Header=BB0_2 Depth=1
	v_cvt_f32_u32_e32 v1, s24
	v_cvt_f32_u32_e32 v5, s25
	s_sub_u32 s2, 0, s24
	s_subb_u32 s3, 0, s25
	v_fmac_f32_e32 v1, 0x4f800000, v5
	v_rcp_f32_e32 v1, v1
	s_nop 0
	v_mul_f32_e32 v1, 0x5f7ffffc, v1
	v_mul_f32_e32 v5, 0x2f800000, v1
	v_trunc_f32_e32 v5, v5
	v_fmac_f32_e32 v1, 0xcf800000, v5
	v_cvt_u32_f32_e32 v5, v5
	v_cvt_u32_f32_e32 v1, v1
	v_mul_lo_u32 v8, s2, v5
	v_mul_hi_u32 v10, s2, v1
	v_mul_lo_u32 v9, s3, v1
	v_add_u32_e32 v10, v10, v8
	v_mul_lo_u32 v12, s2, v1
	v_add_u32_e32 v13, v10, v9
	v_mul_hi_u32 v8, v1, v12
	v_mul_hi_u32 v11, v1, v13
	v_mul_lo_u32 v10, v1, v13
	v_mov_b32_e32 v9, v4
	v_lshl_add_u64 v[8:9], v[8:9], 0, v[10:11]
	v_mul_hi_u32 v11, v5, v12
	v_mul_lo_u32 v12, v5, v12
	v_add_co_u32_e32 v8, vcc, v8, v12
	v_mul_hi_u32 v10, v5, v13
	s_nop 0
	v_addc_co_u32_e32 v8, vcc, v9, v11, vcc
	v_mov_b32_e32 v9, v4
	s_nop 0
	v_addc_co_u32_e32 v11, vcc, 0, v10, vcc
	v_mul_lo_u32 v10, v5, v13
	v_lshl_add_u64 v[8:9], v[8:9], 0, v[10:11]
	v_add_co_u32_e32 v1, vcc, v1, v8
	v_mul_lo_u32 v10, s2, v1
	s_nop 0
	v_addc_co_u32_e32 v5, vcc, v5, v9, vcc
	v_mul_lo_u32 v8, s2, v5
	v_mul_hi_u32 v9, s2, v1
	v_add_u32_e32 v8, v9, v8
	v_mul_lo_u32 v9, s3, v1
	v_add_u32_e32 v12, v8, v9
	v_mul_hi_u32 v14, v5, v10
	v_mul_lo_u32 v15, v5, v10
	v_mul_hi_u32 v9, v1, v12
	v_mul_lo_u32 v8, v1, v12
	v_mul_hi_u32 v10, v1, v10
	v_mov_b32_e32 v11, v4
	v_lshl_add_u64 v[8:9], v[10:11], 0, v[8:9]
	v_add_co_u32_e32 v8, vcc, v8, v15
	v_mul_hi_u32 v13, v5, v12
	s_nop 0
	v_addc_co_u32_e32 v8, vcc, v9, v14, vcc
	v_mul_lo_u32 v10, v5, v12
	s_nop 0
	v_addc_co_u32_e32 v11, vcc, 0, v13, vcc
	v_mov_b32_e32 v9, v4
	v_lshl_add_u64 v[8:9], v[8:9], 0, v[10:11]
	v_add_co_u32_e32 v1, vcc, v1, v8
	v_mul_hi_u32 v10, v6, v1
	s_nop 0
	v_addc_co_u32_e32 v5, vcc, v5, v9, vcc
	v_mad_u64_u32 v[8:9], s[2:3], v6, v5, 0
	v_mov_b32_e32 v11, v4
	v_lshl_add_u64 v[8:9], v[10:11], 0, v[8:9]
	v_mad_u64_u32 v[12:13], s[2:3], v7, v1, 0
	v_add_co_u32_e32 v1, vcc, v8, v12
	v_mad_u64_u32 v[10:11], s[2:3], v7, v5, 0
	s_nop 0
	v_addc_co_u32_e32 v8, vcc, v9, v13, vcc
	v_mov_b32_e32 v9, v4
	s_nop 0
	v_addc_co_u32_e32 v11, vcc, 0, v11, vcc
	v_lshl_add_u64 v[8:9], v[8:9], 0, v[10:11]
	v_mul_lo_u32 v1, s25, v8
	v_mul_lo_u32 v5, s24, v9
	v_mad_u64_u32 v[10:11], s[2:3], s24, v8, 0
	v_add3_u32 v1, v11, v5, v1
	v_sub_u32_e32 v5, v7, v1
	v_mov_b32_e32 v11, s25
	v_sub_co_u32_e32 v14, vcc, v6, v10
	v_lshl_add_u64 v[12:13], v[8:9], 0, 1
	s_nop 0
	v_subb_co_u32_e64 v5, s[2:3], v5, v11, vcc
	v_subrev_co_u32_e64 v10, s[2:3], s24, v14
	v_subb_co_u32_e32 v1, vcc, v7, v1, vcc
	s_nop 0
	v_subbrev_co_u32_e64 v5, s[2:3], 0, v5, s[2:3]
	v_cmp_le_u32_e64 s[2:3], s25, v5
	v_cmp_le_u32_e32 vcc, s25, v1
	s_nop 0
	v_cndmask_b32_e64 v11, 0, -1, s[2:3]
	v_cmp_le_u32_e64 s[2:3], s24, v10
	s_nop 1
	v_cndmask_b32_e64 v10, 0, -1, s[2:3]
	v_cmp_eq_u32_e64 s[2:3], s25, v5
	s_nop 1
	v_cndmask_b32_e64 v5, v11, v10, s[2:3]
	v_lshl_add_u64 v[10:11], v[8:9], 0, 2
	v_cmp_ne_u32_e64 s[2:3], 0, v5
	s_nop 1
	v_cndmask_b32_e64 v5, v13, v11, s[2:3]
	v_cndmask_b32_e64 v11, 0, -1, vcc
	v_cmp_le_u32_e32 vcc, s24, v14
	s_nop 1
	v_cndmask_b32_e64 v13, 0, -1, vcc
	v_cmp_eq_u32_e32 vcc, s25, v1
	s_nop 1
	v_cndmask_b32_e32 v1, v11, v13, vcc
	v_cmp_ne_u32_e32 vcc, 0, v1
	v_cndmask_b32_e64 v1, v12, v10, s[2:3]
	s_nop 0
	v_cndmask_b32_e32 v21, v9, v5, vcc
	v_cndmask_b32_e32 v20, v8, v1, vcc
.LBB0_4:                                ;   in Loop: Header=BB0_2 Depth=1
	s_andn2_saveexec_b64 s[2:3], s[26:27]
	s_cbranch_execz .LBB0_6
; %bb.5:                                ;   in Loop: Header=BB0_2 Depth=1
	v_cvt_f32_u32_e32 v1, s24
	s_sub_i32 s26, 0, s24
	v_mov_b32_e32 v21, v4
	v_rcp_iflag_f32_e32 v1, v1
	s_nop 0
	v_mul_f32_e32 v1, 0x4f7ffffe, v1
	v_cvt_u32_f32_e32 v1, v1
	v_mul_lo_u32 v5, s26, v1
	v_mul_hi_u32 v5, v1, v5
	v_add_u32_e32 v1, v1, v5
	v_mul_hi_u32 v1, v6, v1
	v_mul_lo_u32 v5, v1, s24
	v_sub_u32_e32 v5, v6, v5
	v_add_u32_e32 v8, 1, v1
	v_subrev_u32_e32 v9, s24, v5
	v_cmp_le_u32_e32 vcc, s24, v5
	s_nop 1
	v_cndmask_b32_e32 v5, v5, v9, vcc
	v_cndmask_b32_e32 v1, v1, v8, vcc
	v_add_u32_e32 v8, 1, v1
	v_cmp_le_u32_e32 vcc, s24, v5
	s_nop 1
	v_cndmask_b32_e32 v20, v1, v8, vcc
.LBB0_6:                                ;   in Loop: Header=BB0_2 Depth=1
	s_or_b64 exec, exec, s[2:3]
	v_mad_u64_u32 v[8:9], s[2:3], v20, s24, 0
	s_load_dwordx2 s[2:3], s[18:19], 0x0
	v_mul_lo_u32 v1, v21, s24
	v_mul_lo_u32 v5, v20, s25
	s_load_dwordx2 s[24:25], s[16:17], 0x0
	s_add_u32 s22, s22, 1
	v_add3_u32 v1, v9, v5, v1
	v_sub_co_u32_e32 v5, vcc, v6, v8
	s_addc_u32 s23, s23, 0
	s_nop 0
	v_subb_co_u32_e32 v1, vcc, v7, v1, vcc
	s_add_u32 s16, s16, 8
	s_waitcnt lgkmcnt(0)
	v_mul_lo_u32 v6, s2, v1
	v_mul_lo_u32 v7, s3, v5
	v_mad_u64_u32 v[2:3], s[2:3], s2, v5, v[2:3]
	s_addc_u32 s17, s17, 0
	v_add3_u32 v3, v7, v3, v6
	v_mul_lo_u32 v1, s24, v1
	v_mul_lo_u32 v6, s25, v5
	v_mad_u64_u32 v[16:17], s[2:3], s24, v5, v[16:17]
	s_add_u32 s18, s18, 8
	v_add3_u32 v17, v6, v17, v1
	s_addc_u32 s19, s19, 0
	v_mov_b64_e32 v[6:7], s[10:11]
	s_add_u32 s20, s20, 8
	v_cmp_ge_u64_e32 vcc, s[22:23], v[6:7]
	s_addc_u32 s21, s21, 0
	s_cbranch_vccnz .LBB0_9
; %bb.7:                                ;   in Loop: Header=BB0_2 Depth=1
	v_mov_b64_e32 v[6:7], v[20:21]
	s_branch .LBB0_2
.LBB0_8:
	v_mov_b64_e32 v[16:17], v[2:3]
	v_mov_b64_e32 v[20:21], v[6:7]
.LBB0_9:
	s_load_dwordx2 s[18:19], s[0:1], 0x28
	s_lshl_b64 s[16:17], s[10:11], 3
	s_add_u32 s2, s14, s16
	s_addc_u32 s3, s15, s17
                                        ; implicit-def: $vgpr18
	s_waitcnt lgkmcnt(0)
	v_cmp_gt_u64_e64 s[0:1], s[18:19], v[20:21]
	v_cmp_le_u64_e32 vcc, s[18:19], v[20:21]
	s_and_saveexec_b64 s[10:11], vcc
	s_xor_b64 s[10:11], exec, s[10:11]
; %bb.10:
	s_mov_b32 s14, 0x2d82d83
	v_mul_hi_u32 v1, v0, s14
	v_mul_u32_u24_e32 v1, 0x5a, v1
	v_sub_u32_e32 v18, v0, v1
                                        ; implicit-def: $vgpr0
                                        ; implicit-def: $vgpr2_vgpr3
; %bb.11:
	s_or_saveexec_b64 s[10:11], s[10:11]
	s_load_dwordx2 s[2:3], s[2:3], 0x0
	s_xor_b64 exec, exec, s[10:11]
	s_cbranch_execz .LBB0_15
; %bb.12:
	s_add_u32 s12, s12, s16
	s_addc_u32 s13, s13, s17
	s_load_dwordx2 s[12:13], s[12:13], 0x0
	s_mov_b32 s14, 0x2d82d83
	s_waitcnt lgkmcnt(0)
	v_mul_lo_u32 v1, s13, v20
	v_mul_lo_u32 v6, s12, v21
	v_mad_u64_u32 v[4:5], s[12:13], s12, v20, 0
	v_add3_u32 v5, v5, v6, v1
	v_mul_hi_u32 v1, v0, s14
	v_mul_u32_u24_e32 v1, 0x5a, v1
	v_sub_u32_e32 v18, v0, v1
	v_lshl_add_u64 v[0:1], v[4:5], 3, s[4:5]
	v_lshl_add_u64 v[2:3], v[2:3], 3, v[0:1]
	v_lshlrev_b32_e32 v0, 3, v18
	v_mov_b32_e32 v1, 0
	v_lshl_add_u64 v[4:5], v[2:3], 0, v[0:1]
	s_movk_i32 s4, 0x1000
	v_add_co_u32_e32 v8, vcc, s4, v4
	s_movk_i32 s4, 0x2000
	s_nop 0
	v_addc_co_u32_e32 v9, vcc, 0, v5, vcc
	v_add_co_u32_e32 v30, vcc, s4, v4
	s_movk_i32 s5, 0x3000
	s_nop 0
	v_addc_co_u32_e32 v31, vcc, 0, v5, vcc
	;; [unrolled: 4-line block ×3, first 2 shown]
	global_load_dwordx2 v[6:7], v[4:5], off offset:2160
	global_load_dwordx2 v[10:11], v[4:5], off offset:2880
	;; [unrolled: 1-line block ×5, first 2 shown]
	global_load_dwordx2 v[24:25], v[4:5], off
	global_load_dwordx2 v[26:27], v[4:5], off offset:1440
	global_load_dwordx2 v[28:29], v[4:5], off offset:720
	v_add_co_u32_e32 v34, vcc, s12, v4
	v_add_u32_e32 v0, 0, v0
	s_nop 0
	v_addc_co_u32_e32 v35, vcc, 0, v5, vcc
	v_add_co_u32_e32 v4, vcc, 0x5000, v4
	global_load_dwordx2 v[36:37], v[8:9], off offset:1664
	global_load_dwordx2 v[38:39], v[8:9], off offset:2384
	;; [unrolled: 1-line block ×15, first 2 shown]
                                        ; kill: killed $vgpr32 killed $vgpr33
                                        ; kill: killed $vgpr8 killed $vgpr9
                                        ; kill: killed $vgpr30 killed $vgpr31
	global_load_dwordx2 v[8:9], v[34:35], off offset:176
	global_load_dwordx2 v[30:31], v[34:35], off offset:896
	s_nop 0
	global_load_dwordx2 v[32:33], v[34:35], off offset:1616
	global_load_dwordx2 v[66:67], v[34:35], off offset:2336
	;; [unrolled: 1-line block ×3, first 2 shown]
	v_addc_co_u32_e32 v5, vcc, 0, v5, vcc
	global_load_dwordx2 v[70:71], v[34:35], off offset:3776
	global_load_dwordx2 v[72:73], v[4:5], off offset:400
	v_add_u32_e32 v4, 0x400, v0
	v_add_u32_e32 v5, 0x800, v0
	;; [unrolled: 1-line block ×10, first 2 shown]
	s_movk_i32 s4, 0x59
	v_cmp_eq_u32_e32 vcc, s4, v18
	s_waitcnt vmcnt(23)
	ds_write2_b64 v4, v[26:27], v[6:7] offset0:52 offset1:142
	ds_write2_b64 v5, v[10:11], v[12:13] offset0:104 offset1:194
	s_waitcnt vmcnt(22)
	ds_write2_b64 v0, v[24:25], v[28:29] offset1:90
	ds_write2_b64 v19, v[14:15], v[22:23] offset0:28 offset1:118
	s_waitcnt vmcnt(20)
	ds_write2_b64 v34, v[36:37], v[38:39] offset0:80 offset1:170
	s_waitcnt vmcnt(18)
	;; [unrolled: 2-line block ×7, first 2 shown]
	ds_write2_b64 v78, v[60:61], v[62:63] offset0:8 offset1:98
	v_add_u32_e32 v4, 0x3c00, v0
	s_waitcnt vmcnt(6)
	ds_write2_b64 v4, v[64:65], v[8:9] offset0:60 offset1:150
	v_add_u32_e32 v4, 0x4000, v0
	s_waitcnt vmcnt(4)
	ds_write2_b64 v4, v[30:31], v[32:33] offset0:112 offset1:202
	v_add_u32_e32 v4, 0x4800, v0
	v_add_u32_e32 v0, 0x4c00, v0
	s_waitcnt vmcnt(2)
	ds_write2_b64 v4, v[66:67], v[68:69] offset0:36 offset1:126
	s_waitcnt vmcnt(0)
	ds_write2_b64 v0, v[70:71], v[72:73] offset0:88 offset1:178
	s_and_saveexec_b64 s[4:5], vcc
	s_cbranch_execz .LBB0_14
; %bb.13:
	v_add_co_u32_e32 v2, vcc, 0x5000, v2
	v_mov_b32_e32 v18, 0x59
	s_nop 0
	v_addc_co_u32_e32 v3, vcc, 0, v3, vcc
	global_load_dwordx2 v[2:3], v[2:3], off offset:1120
	s_waitcnt vmcnt(0)
	ds_write_b64 v1, v[2:3] offset:21600
.LBB0_14:
	s_or_b64 exec, exec, s[4:5]
.LBB0_15:
	s_or_b64 exec, exec, s[10:11]
	v_lshlrev_b32_e32 v0, 3, v18
	v_add_u32_e32 v90, 0, v0
	s_waitcnt lgkmcnt(0)
	s_barrier
	v_sub_u32_e32 v4, 0, v0
	ds_read_b32 v0, v90
	ds_read_b32 v1, v4 offset:21600
	s_add_u32 s4, s8, 0x5448
	s_addc_u32 s5, s9, 0
	v_cmp_ne_u32_e32 vcc, 0, v18
	s_waitcnt lgkmcnt(0)
	v_add_f32_e32 v2, v1, v0
	v_sub_f32_e32 v3, v0, v1
                                        ; implicit-def: $vgpr0_vgpr1
	s_and_saveexec_b64 s[10:11], vcc
	s_xor_b64 s[10:11], exec, s[10:11]
	s_cbranch_execz .LBB0_17
; %bb.16:
	v_mov_b32_e32 v19, 0
	v_lshl_add_u64 v[0:1], v[18:19], 3, s[4:5]
	global_load_dwordx2 v[6:7], v[0:1], off
	ds_read_b32 v5, v4 offset:21604
	ds_read_b32 v11, v90 offset:4
	v_mov_b32_e32 v8, v3
	v_mov_b32_e32 v10, v2
	;; [unrolled: 1-line block ×3, first 2 shown]
	v_mov_b64_e32 v[0:1], v[18:19]
	s_waitcnt lgkmcnt(0)
	v_add_f32_e32 v9, v5, v11
	v_sub_f32_e32 v11, v11, v5
	v_mov_b32_e32 v12, v9
	s_waitcnt vmcnt(0)
	v_pk_mul_f32 v[14:15], v[8:9], v[6:7] op_sel:[0,1]
	v_pk_fma_f32 v[8:9], v[8:9], v[6:7], v[10:11] op_sel:[0,1,0]
	v_mov_b32_e32 v3, v15
	v_mov_b32_e32 v15, v11
	v_pk_fma_f32 v[22:23], v[6:7], v[12:13], v[8:9] neg_lo:[1,0,0] neg_hi:[1,0,0]
	v_pk_fma_f32 v[8:9], v[6:7], v[12:13], v[8:9] op_sel_hi:[0,1,1]
	v_pk_add_f32 v[2:3], v[2:3], v[14:15] neg_lo:[0,1] neg_hi:[0,1]
	v_mov_b32_e32 v23, v9
	v_pk_fma_f32 v[2:3], v[6:7], v[12:13], v[2:3] op_sel_hi:[0,1,1]
	ds_write_b64 v4, v[2:3] offset:21600
	v_mov_b64_e32 v[2:3], v[22:23]
.LBB0_17:
	s_andn2_saveexec_b64 s[10:11], s[10:11]
	s_cbranch_execz .LBB0_19
; %bb.18:
	v_mov_b32_e32 v5, 0
	ds_read_b64 v[0:1], v5 offset:10800
	s_mov_b32 s12, 2.0
	s_mov_b32 s13, -2.0
	s_waitcnt lgkmcnt(0)
	v_pk_mul_f32 v[0:1], v[0:1], s[12:13]
	ds_write_b64 v5, v[0:1] offset:10800
	v_mov_b64_e32 v[0:1], 0
.LBB0_19:
	s_or_b64 exec, exec, s[10:11]
	v_lshl_add_u64 v[0:1], v[0:1], 3, s[4:5]
	global_load_dwordx2 v[6:7], v[0:1], off offset:720
	global_load_dwordx2 v[8:9], v[0:1], off offset:1440
	;; [unrolled: 1-line block ×3, first 2 shown]
	ds_write_b64 v90, v[2:3]
	ds_read_b64 v[2:3], v90 offset:720
	ds_read_b64 v[12:13], v4 offset:20880
	global_load_dwordx2 v[14:15], v[0:1], off offset:2880
	s_movk_i32 s5, 0x1000
	s_movk_i32 s4, 0x2000
	v_add_u32_e32 v102, 0x1800, v90
	s_waitcnt lgkmcnt(0)
	v_pk_add_f32 v[22:23], v[2:3], v[12:13] neg_lo:[0,1] neg_hi:[0,1]
	v_pk_add_f32 v[2:3], v[2:3], v[12:13]
	v_mov_b32_e32 v12, v22
	v_mov_b32_e32 v13, v3
	;; [unrolled: 1-line block ×6, first 2 shown]
	v_add_u32_e32 v101, 0x3800, v90
	v_add_u32_e32 v100, 0x2000, v90
	;; [unrolled: 1-line block ×14, first 2 shown]
	s_movk_i32 s10, 0xab
	v_add_u32_e32 v104, 0xb4, v18
	v_mov_b32_e32 v107, 9
	s_mov_b32 s12, 0x3f737871
	s_mov_b32 s18, 0x3f4f1bbd
	;; [unrolled: 1-line block ×7, first 2 shown]
	s_waitcnt vmcnt(3)
	v_pk_mul_f32 v[28:29], v[12:13], v[6:7] op_sel:[0,1]
	v_pk_fma_f32 v[12:13], v[12:13], v[6:7], v[24:25] op_sel:[0,1,0]
	v_mov_b32_e32 v3, v29
	v_mov_b32_e32 v29, v23
	v_pk_fma_f32 v[24:25], v[6:7], v[26:27], v[12:13] neg_lo:[1,0,0] neg_hi:[1,0,0]
	v_pk_fma_f32 v[12:13], v[6:7], v[26:27], v[12:13] op_sel_hi:[0,1,1]
	v_pk_add_f32 v[2:3], v[2:3], v[28:29] neg_lo:[0,1] neg_hi:[0,1]
	v_mov_b32_e32 v25, v13
	v_pk_fma_f32 v[2:3], v[6:7], v[26:27], v[2:3] op_sel_hi:[0,1,1]
	ds_write_b64 v90, v[24:25] offset:720
	ds_write_b64 v4, v[2:3] offset:20880
	ds_read_b64 v[2:3], v4 offset:20160
	ds_read_b64 v[6:7], v90 offset:1440
	global_load_dwordx2 v[12:13], v[0:1], off offset:3600
	s_waitcnt lgkmcnt(0)
	v_pk_add_f32 v[22:23], v[6:7], v[2:3] neg_lo:[0,1] neg_hi:[0,1]
	v_pk_add_f32 v[2:3], v[6:7], v[2:3]
	v_mov_b32_e32 v6, v22
	v_mov_b32_e32 v7, v3
	;; [unrolled: 1-line block ×4, first 2 shown]
	s_waitcnt vmcnt(3)
	v_pk_mul_f32 v[28:29], v[6:7], v[8:9] op_sel:[0,1]
	v_mov_b32_e32 v26, v3
	v_mov_b32_e32 v27, v22
	v_pk_fma_f32 v[6:7], v[6:7], v[8:9], v[24:25] op_sel:[0,1,0]
	v_mov_b32_e32 v3, v29
	v_mov_b32_e32 v29, v23
	v_pk_fma_f32 v[24:25], v[8:9], v[26:27], v[6:7] neg_lo:[1,0,0] neg_hi:[1,0,0]
	v_pk_fma_f32 v[6:7], v[8:9], v[26:27], v[6:7] op_sel_hi:[0,1,1]
	v_pk_add_f32 v[2:3], v[2:3], v[28:29] neg_lo:[0,1] neg_hi:[0,1]
	v_mov_b32_e32 v25, v7
	v_pk_fma_f32 v[2:3], v[8:9], v[26:27], v[2:3] op_sel_hi:[0,1,1]
	v_add_co_u32_e32 v8, vcc, s5, v0
	ds_write_b64 v90, v[24:25] offset:1440
	ds_write_b64 v4, v[2:3] offset:20160
	v_addc_co_u32_e32 v9, vcc, 0, v1, vcc
	ds_read_b64 v[2:3], v4 offset:19440
	ds_read_b64 v[6:7], v90 offset:2160
	global_load_dwordx2 v[22:23], v[8:9], off offset:224
	v_add_co_u32_e32 v0, vcc, s4, v0
	s_mov_b32 s4, 0x3f5db3d7
	s_waitcnt lgkmcnt(0)
	v_pk_add_f32 v[24:25], v[6:7], v[2:3] neg_lo:[0,1] neg_hi:[0,1]
	v_pk_add_f32 v[2:3], v[6:7], v[2:3]
	v_mov_b32_e32 v6, v24
	v_mov_b32_e32 v7, v3
	;; [unrolled: 1-line block ×4, first 2 shown]
	s_waitcnt vmcnt(3)
	v_pk_mul_f32 v[30:31], v[6:7], v[10:11] op_sel:[0,1]
	v_mov_b32_e32 v28, v3
	v_mov_b32_e32 v29, v24
	v_pk_fma_f32 v[6:7], v[6:7], v[10:11], v[26:27] op_sel:[0,1,0]
	v_mov_b32_e32 v3, v31
	v_mov_b32_e32 v31, v25
	v_pk_fma_f32 v[26:27], v[10:11], v[28:29], v[6:7] neg_lo:[1,0,0] neg_hi:[1,0,0]
	v_pk_fma_f32 v[6:7], v[10:11], v[28:29], v[6:7] op_sel_hi:[0,1,1]
	v_pk_add_f32 v[2:3], v[2:3], v[30:31] neg_lo:[0,1] neg_hi:[0,1]
	v_mov_b32_e32 v27, v7
	v_pk_fma_f32 v[2:3], v[10:11], v[28:29], v[2:3] op_sel_hi:[0,1,1]
	ds_write_b64 v90, v[26:27] offset:2160
	ds_write_b64 v4, v[2:3] offset:19440
	ds_read_b64 v[2:3], v4 offset:18720
	ds_read_b64 v[6:7], v90 offset:2880
	global_load_dwordx2 v[10:11], v[8:9], off offset:944
	v_addc_co_u32_e32 v1, vcc, 0, v1, vcc
	v_cmp_gt_u32_e32 vcc, 30, v18
	s_waitcnt lgkmcnt(0)
	v_pk_add_f32 v[24:25], v[6:7], v[2:3] neg_lo:[0,1] neg_hi:[0,1]
	v_pk_add_f32 v[2:3], v[6:7], v[2:3]
	v_mov_b32_e32 v6, v24
	v_mov_b32_e32 v7, v3
	;; [unrolled: 1-line block ×4, first 2 shown]
	s_waitcnt vmcnt(3)
	v_pk_mul_f32 v[30:31], v[6:7], v[14:15] op_sel:[0,1]
	v_mov_b32_e32 v28, v3
	v_mov_b32_e32 v29, v24
	v_pk_fma_f32 v[6:7], v[6:7], v[14:15], v[26:27] op_sel:[0,1,0]
	v_mov_b32_e32 v3, v31
	v_mov_b32_e32 v31, v25
	v_pk_fma_f32 v[26:27], v[14:15], v[28:29], v[6:7] neg_lo:[1,0,0] neg_hi:[1,0,0]
	v_pk_fma_f32 v[6:7], v[14:15], v[28:29], v[6:7] op_sel_hi:[0,1,1]
	v_pk_add_f32 v[2:3], v[2:3], v[30:31] neg_lo:[0,1] neg_hi:[0,1]
	v_mov_b32_e32 v27, v7
	v_pk_fma_f32 v[2:3], v[14:15], v[28:29], v[2:3] op_sel_hi:[0,1,1]
	ds_write_b64 v90, v[26:27] offset:2880
	ds_write_b64 v4, v[2:3] offset:18720
	ds_read_b64 v[2:3], v4 offset:18000
	ds_read_b64 v[6:7], v90 offset:3600
	global_load_dwordx2 v[14:15], v[8:9], off offset:1664
	s_waitcnt lgkmcnt(0)
	v_pk_add_f32 v[24:25], v[6:7], v[2:3] neg_lo:[0,1] neg_hi:[0,1]
	v_pk_add_f32 v[2:3], v[6:7], v[2:3]
	v_mov_b32_e32 v6, v24
	v_mov_b32_e32 v7, v3
	;; [unrolled: 1-line block ×4, first 2 shown]
	s_waitcnt vmcnt(3)
	v_pk_mul_f32 v[30:31], v[6:7], v[12:13] op_sel:[0,1]
	v_mov_b32_e32 v28, v3
	v_mov_b32_e32 v29, v24
	v_pk_fma_f32 v[6:7], v[6:7], v[12:13], v[26:27] op_sel:[0,1,0]
	v_mov_b32_e32 v3, v31
	v_mov_b32_e32 v31, v25
	v_pk_fma_f32 v[26:27], v[12:13], v[28:29], v[6:7] neg_lo:[1,0,0] neg_hi:[1,0,0]
	v_pk_fma_f32 v[6:7], v[12:13], v[28:29], v[6:7] op_sel_hi:[0,1,1]
	v_pk_add_f32 v[2:3], v[2:3], v[30:31] neg_lo:[0,1] neg_hi:[0,1]
	v_mov_b32_e32 v27, v7
	v_pk_fma_f32 v[2:3], v[12:13], v[28:29], v[2:3] op_sel_hi:[0,1,1]
	ds_write_b64 v90, v[26:27] offset:3600
	ds_write_b64 v4, v[2:3] offset:18000
	ds_read_b64 v[2:3], v4 offset:17280
	ds_read_b64 v[6:7], v90 offset:4320
	global_load_dwordx2 v[12:13], v[8:9], off offset:2384
	s_waitcnt lgkmcnt(0)
	v_pk_add_f32 v[24:25], v[6:7], v[2:3] neg_lo:[0,1] neg_hi:[0,1]
	v_pk_add_f32 v[2:3], v[6:7], v[2:3]
	v_mov_b32_e32 v6, v24
	v_mov_b32_e32 v7, v3
	;; [unrolled: 1-line block ×4, first 2 shown]
	s_waitcnt vmcnt(3)
	v_pk_mul_f32 v[30:31], v[6:7], v[22:23] op_sel:[0,1]
	v_mov_b32_e32 v28, v3
	v_mov_b32_e32 v29, v24
	v_pk_fma_f32 v[6:7], v[6:7], v[22:23], v[26:27] op_sel:[0,1,0]
	v_mov_b32_e32 v3, v31
	v_mov_b32_e32 v31, v25
	v_pk_fma_f32 v[26:27], v[22:23], v[28:29], v[6:7] neg_lo:[1,0,0] neg_hi:[1,0,0]
	v_pk_fma_f32 v[6:7], v[22:23], v[28:29], v[6:7] op_sel_hi:[0,1,1]
	v_pk_add_f32 v[2:3], v[2:3], v[30:31] neg_lo:[0,1] neg_hi:[0,1]
	v_mov_b32_e32 v27, v7
	v_pk_fma_f32 v[2:3], v[22:23], v[28:29], v[2:3] op_sel_hi:[0,1,1]
	ds_write_b64 v90, v[26:27] offset:4320
	ds_write_b64 v4, v[2:3] offset:17280
	ds_read_b64 v[2:3], v4 offset:16560
	ds_read_b64 v[6:7], v90 offset:5040
	s_waitcnt lgkmcnt(0)
	v_pk_add_f32 v[22:23], v[6:7], v[2:3] neg_lo:[0,1] neg_hi:[0,1]
	v_pk_add_f32 v[2:3], v[6:7], v[2:3]
	v_mov_b32_e32 v6, v22
	v_mov_b32_e32 v7, v3
	;; [unrolled: 1-line block ×4, first 2 shown]
	s_waitcnt vmcnt(2)
	v_pk_mul_f32 v[28:29], v[6:7], v[10:11] op_sel:[0,1]
	v_pk_fma_f32 v[6:7], v[6:7], v[10:11], v[24:25] op_sel:[0,1,0]
	global_load_dwordx2 v[24:25], v[8:9], off offset:3104
	v_mov_b32_e32 v26, v3
	v_mov_b32_e32 v27, v22
	v_mov_b32_e32 v3, v29
	v_mov_b32_e32 v29, v23
	v_pk_fma_f32 v[30:31], v[10:11], v[26:27], v[6:7] neg_lo:[1,0,0] neg_hi:[1,0,0]
	v_pk_fma_f32 v[6:7], v[10:11], v[26:27], v[6:7] op_sel_hi:[0,1,1]
	v_pk_add_f32 v[2:3], v[2:3], v[28:29] neg_lo:[0,1] neg_hi:[0,1]
	v_mov_b32_e32 v31, v7
	v_pk_fma_f32 v[2:3], v[10:11], v[26:27], v[2:3] op_sel_hi:[0,1,1]
	ds_write_b64 v90, v[30:31] offset:5040
	ds_write_b64 v4, v[2:3] offset:16560
	ds_read_b64 v[2:3], v4 offset:15840
	ds_read_b64 v[6:7], v90 offset:5760
	global_load_dwordx2 v[8:9], v[8:9], off offset:3824
	s_waitcnt lgkmcnt(0)
	v_pk_add_f32 v[10:11], v[6:7], v[2:3] neg_lo:[0,1] neg_hi:[0,1]
	v_pk_add_f32 v[2:3], v[6:7], v[2:3]
	v_mov_b32_e32 v6, v10
	v_mov_b32_e32 v7, v3
	v_mov_b32_e32 v22, v2
	v_mov_b32_e32 v23, v11
	s_waitcnt vmcnt(3)
	v_pk_mul_f32 v[26:27], v[6:7], v[14:15] op_sel:[0,1]
	v_pk_fma_f32 v[6:7], v[6:7], v[14:15], v[22:23] op_sel:[0,1,0]
	v_mov_b32_e32 v22, v3
	v_mov_b32_e32 v23, v10
	v_mov_b32_e32 v3, v27
	v_mov_b32_e32 v27, v11
	v_pk_fma_f32 v[28:29], v[14:15], v[22:23], v[6:7] neg_lo:[1,0,0] neg_hi:[1,0,0]
	v_pk_fma_f32 v[6:7], v[14:15], v[22:23], v[6:7] op_sel_hi:[0,1,1]
	v_pk_add_f32 v[2:3], v[2:3], v[26:27] neg_lo:[0,1] neg_hi:[0,1]
	v_mov_b32_e32 v29, v7
	v_pk_fma_f32 v[2:3], v[14:15], v[22:23], v[2:3] op_sel_hi:[0,1,1]
	ds_write_b64 v90, v[28:29] offset:5760
	ds_write_b64 v4, v[2:3] offset:15840
	ds_read_b64 v[2:3], v4 offset:15120
	ds_read_b64 v[6:7], v90 offset:6480
	global_load_dwordx2 v[14:15], v[0:1], off offset:448
	s_waitcnt lgkmcnt(0)
	v_pk_add_f32 v[10:11], v[6:7], v[2:3] neg_lo:[0,1] neg_hi:[0,1]
	v_pk_add_f32 v[2:3], v[6:7], v[2:3]
	v_mov_b32_e32 v6, v10
	v_mov_b32_e32 v7, v3
	v_mov_b32_e32 v22, v2
	v_mov_b32_e32 v23, v11
	s_waitcnt vmcnt(3)
	v_pk_mul_f32 v[26:27], v[6:7], v[12:13] op_sel:[0,1]
	v_pk_fma_f32 v[6:7], v[6:7], v[12:13], v[22:23] op_sel:[0,1,0]
	;; [unrolled: 24-line block ×4, first 2 shown]
	v_mov_b32_e32 v22, v3
	v_mov_b32_e32 v23, v10
	v_mov_b32_e32 v3, v25
	v_mov_b32_e32 v25, v11
	v_pk_fma_f32 v[26:27], v[8:9], v[22:23], v[6:7] neg_lo:[1,0,0] neg_hi:[1,0,0]
	v_pk_fma_f32 v[6:7], v[8:9], v[22:23], v[6:7] op_sel_hi:[0,1,1]
	v_pk_add_f32 v[2:3], v[2:3], v[24:25] neg_lo:[0,1] neg_hi:[0,1]
	v_mov_b32_e32 v27, v7
	v_pk_fma_f32 v[2:3], v[8:9], v[22:23], v[2:3] op_sel_hi:[0,1,1]
	ds_write_b64 v90, v[26:27] offset:7920
	ds_write_b64 v4, v[2:3] offset:13680
	ds_read_b64 v[2:3], v4 offset:12960
	ds_read_b64 v[6:7], v90 offset:8640
	s_waitcnt lgkmcnt(0)
	v_pk_add_f32 v[8:9], v[6:7], v[2:3] neg_lo:[0,1] neg_hi:[0,1]
	v_pk_add_f32 v[2:3], v[6:7], v[2:3]
	v_mov_b32_e32 v6, v8
	v_mov_b32_e32 v7, v3
	v_mov_b32_e32 v10, v2
	v_mov_b32_e32 v11, v9
	s_waitcnt vmcnt(2)
	v_pk_mul_f32 v[22:23], v[6:7], v[14:15] op_sel:[0,1]
	v_pk_fma_f32 v[6:7], v[6:7], v[14:15], v[10:11] op_sel:[0,1,0]
	v_mov_b32_e32 v10, v3
	v_mov_b32_e32 v11, v8
	v_mov_b32_e32 v3, v23
	v_mov_b32_e32 v23, v9
	v_pk_fma_f32 v[24:25], v[14:15], v[10:11], v[6:7] neg_lo:[1,0,0] neg_hi:[1,0,0]
	v_pk_fma_f32 v[6:7], v[14:15], v[10:11], v[6:7] op_sel_hi:[0,1,1]
	v_pk_add_f32 v[2:3], v[2:3], v[22:23] neg_lo:[0,1] neg_hi:[0,1]
	v_mov_b32_e32 v25, v7
	v_pk_fma_f32 v[2:3], v[14:15], v[10:11], v[2:3] op_sel_hi:[0,1,1]
	ds_write_b64 v90, v[24:25] offset:8640
	ds_write_b64 v4, v[2:3] offset:12960
	ds_read_b64 v[2:3], v4 offset:12240
	ds_read_b64 v[6:7], v90 offset:9360
	s_waitcnt lgkmcnt(0)
	v_pk_add_f32 v[8:9], v[6:7], v[2:3] neg_lo:[0,1] neg_hi:[0,1]
	v_pk_add_f32 v[2:3], v[6:7], v[2:3]
	v_mov_b32_e32 v6, v8
	v_mov_b32_e32 v7, v3
	v_mov_b32_e32 v10, v2
	v_mov_b32_e32 v11, v9
	s_waitcnt vmcnt(1)
	v_pk_mul_f32 v[14:15], v[6:7], v[12:13] op_sel:[0,1]
	v_pk_fma_f32 v[6:7], v[6:7], v[12:13], v[10:11] op_sel:[0,1,0]
	;; [unrolled: 23-line block ×3, first 2 shown]
	v_mov_b32_e32 v10, v3
	v_mov_b32_e32 v11, v8
	;; [unrolled: 1-line block ×4, first 2 shown]
	v_pk_fma_f32 v[14:15], v[0:1], v[10:11], v[6:7] neg_lo:[1,0,0] neg_hi:[1,0,0]
	v_pk_fma_f32 v[6:7], v[0:1], v[10:11], v[6:7] op_sel_hi:[0,1,1]
	v_pk_add_f32 v[2:3], v[2:3], v[12:13] neg_lo:[0,1] neg_hi:[0,1]
	v_mov_b32_e32 v15, v7
	v_pk_fma_f32 v[0:1], v[0:1], v[10:11], v[2:3] op_sel_hi:[0,1,1]
	ds_write_b64 v90, v[14:15] offset:10080
	ds_write_b64 v4, v[0:1] offset:11520
	s_waitcnt lgkmcnt(0)
	s_barrier
	s_barrier
	ds_read2_b64 v[0:3], v90 offset1:90
	ds_read2_b64 v[4:7], v102 offset0:132 offset1:222
	ds_read2_b64 v[8:11], v101 offset0:8 offset1:98
	;; [unrolled: 1-line block ×5, first 2 shown]
	s_waitcnt lgkmcnt(4)
	v_pk_add_f32 v[12:13], v[2:3], v[6:7]
	ds_read2_b64 v[34:37], v91 offset0:108 offset1:198
	s_waitcnt lgkmcnt(4)
	v_pk_add_f32 v[14:15], v[12:13], v[10:11]
	v_pk_add_f32 v[12:13], v[6:7], v[10:11]
	v_pk_add_f32 v[6:7], v[6:7], v[10:11] neg_lo:[0,1] neg_hi:[0,1]
	v_pk_fma_f32 v[2:3], v[12:13], 0.5, v[2:3] op_sel_hi:[1,0,1] neg_lo:[1,0,0] neg_hi:[1,0,0]
	v_pk_mul_f32 v[6:7], v[6:7], s[4:5] op_sel_hi:[1,0]
	ds_read2_b64 v[10:13], v103 offset0:52 offset1:142
	v_pk_add_f32 v[66:67], v[2:3], v[6:7] op_sel:[0,1] op_sel_hi:[1,0] neg_lo:[0,1] neg_hi:[0,1]
	v_pk_add_f32 v[2:3], v[2:3], v[6:7] op_sel:[0,1] op_sel_hi:[1,0]
	v_mov_b32_e32 v6, v66
	v_lshl_add_u32 v66, v18, 4, v90
	v_mov_b32_e32 v7, v3
	v_add_u32_e32 v3, 0x870, v66
	ds_read2_b64 v[38:41], v19 offset0:112 offset1:202
	ds_read2_b64 v[42:45], v94 offset0:28 offset1:118
	;; [unrolled: 1-line block ×7, first 2 shown]
	s_waitcnt lgkmcnt(0)
	s_barrier
	ds_write2_b64 v3, v[14:15], v[6:7] offset1:1
	v_pk_add_f32 v[6:7], v[22:23], v[26:27]
	v_pk_add_f32 v[14:15], v[22:23], v[26:27] neg_lo:[0,1] neg_hi:[0,1]
	v_pk_fma_f32 v[6:7], v[6:7], 0.5, v[10:11] op_sel_hi:[1,0,1] neg_lo:[1,0,0] neg_hi:[1,0,0]
	v_pk_mul_f32 v[14:15], v[14:15], s[4:5] op_sel_hi:[1,0]
	v_pk_add_f32 v[10:11], v[10:11], v[22:23]
	v_pk_add_f32 v[68:69], v[6:7], v[14:15] op_sel:[0,1] op_sel_hi:[1,0] neg_lo:[0,1] neg_hi:[0,1]
	v_pk_add_f32 v[6:7], v[6:7], v[14:15] op_sel:[0,1] op_sel_hi:[1,0]
	v_pk_add_f32 v[10:11], v[10:11], v[26:27]
	v_mov_b32_e32 v14, v68
	v_mov_b32_e32 v15, v7
	v_add_u32_e32 v3, 0x10e0, v66
	ds_write2_b64 v3, v[10:11], v[14:15] offset1:1
	v_pk_add_f32 v[14:15], v[24:25], v[28:29]
	v_pk_add_f32 v[22:23], v[24:25], v[28:29] neg_lo:[0,1] neg_hi:[0,1]
	v_pk_add_f32 v[10:11], v[12:13], v[24:25]
	v_pk_fma_f32 v[12:13], v[14:15], 0.5, v[12:13] op_sel_hi:[1,0,1] neg_lo:[1,0,0] neg_hi:[1,0,0]
	v_pk_mul_f32 v[14:15], v[22:23], s[4:5] op_sel_hi:[1,0]
	v_pk_add_f32 v[10:11], v[10:11], v[28:29]
	v_pk_add_f32 v[22:23], v[12:13], v[14:15] op_sel:[0,1] op_sel_hi:[1,0] neg_lo:[0,1] neg_hi:[0,1]
	v_pk_add_f32 v[12:13], v[12:13], v[14:15] op_sel:[0,1] op_sel_hi:[1,0]
	v_mov_b32_e32 v14, v22
	v_mov_b32_e32 v15, v13
	v_add_u32_e32 v3, 0x1950, v66
	ds_write2_b64 v3, v[10:11], v[14:15] offset1:1
	v_pk_add_f32 v[10:11], v[0:1], v[4:5]
	v_pk_add_f32 v[14:15], v[4:5], v[8:9]
	v_pk_add_f32 v[4:5], v[4:5], v[8:9] neg_lo:[0,1] neg_hi:[0,1]
	v_pk_add_f32 v[28:29], v[36:37], v[40:41]
	v_pk_fma_f32 v[0:1], v[14:15], 0.5, v[0:1] op_sel_hi:[1,0,1] neg_lo:[1,0,0] neg_hi:[1,0,0]
	v_pk_add_f32 v[14:15], v[34:35], v[38:39]
	v_pk_add_f32 v[26:27], v[32:33], v[36:37]
	v_pk_fma_f32 v[28:29], v[28:29], 0.5, v[32:33] op_sel_hi:[1,0,1] neg_lo:[1,0,0] neg_hi:[1,0,0]
	v_pk_add_f32 v[32:33], v[46:47], v[50:51]
	v_pk_mul_f32 v[4:5], v[4:5], s[4:5] op_sel_hi:[1,0]
	v_pk_add_f32 v[8:9], v[10:11], v[8:9]
	v_pk_add_f32 v[10:11], v[30:31], v[34:35]
	v_pk_fma_f32 v[14:15], v[14:15], 0.5, v[30:31] op_sel_hi:[1,0,1] neg_lo:[1,0,0] neg_hi:[1,0,0]
	v_pk_add_f32 v[30:31], v[42:43], v[46:47]
	v_pk_fma_f32 v[32:33], v[32:33], 0.5, v[42:43] op_sel_hi:[1,0,1] neg_lo:[1,0,0] neg_hi:[1,0,0]
	v_pk_add_f32 v[42:43], v[0:1], v[4:5] op_sel:[0,1] op_sel_hi:[1,0] neg_lo:[0,1] neg_hi:[0,1]
	v_pk_add_f32 v[0:1], v[0:1], v[4:5] op_sel:[0,1] op_sel_hi:[1,0]
	v_pk_add_f32 v[24:25], v[34:35], v[38:39] neg_lo:[0,1] neg_hi:[0,1]
	v_mov_b32_e32 v4, v42
	v_mov_b32_e32 v5, v1
	ds_write2_b64 v66, v[8:9], v[4:5] offset1:1
	v_pk_mul_f32 v[4:5], v[24:25], s[4:5] op_sel_hi:[1,0]
	v_pk_add_f32 v[34:35], v[36:37], v[40:41] neg_lo:[0,1] neg_hi:[0,1]
	v_pk_add_f32 v[8:9], v[14:15], v[4:5] op_sel:[0,1] op_sel_hi:[1,0] neg_lo:[0,1] neg_hi:[0,1]
	v_pk_add_f32 v[4:5], v[14:15], v[4:5] op_sel:[0,1] op_sel_hi:[1,0]
	v_mov_b32_e32 v1, v43
	v_mov_b32_e32 v7, v69
	v_pk_add_f32 v[10:11], v[10:11], v[38:39]
	v_pk_add_f32 v[36:37], v[46:47], v[50:51] neg_lo:[0,1] neg_hi:[0,1]
	v_pk_mul_f32 v[14:15], v[34:35], s[4:5] op_sel_hi:[1,0]
	ds_write_b64 v66, v[0:1] offset:16
	v_mov_b32_e32 v3, v67
	ds_write_b64 v66, v[6:7] offset:4336
	v_mov_b32_e32 v13, v23
	v_add_u32_e32 v6, 0x21c8, v66
	v_mov_b32_e32 v0, v8
	v_mov_b32_e32 v1, v5
	;; [unrolled: 1-line block ×3, first 2 shown]
	v_pk_add_f32 v[26:27], v[26:27], v[40:41]
	v_pk_add_f32 v[40:41], v[48:49], v[52:53]
	v_pk_add_f32 v[46:47], v[48:49], v[52:53] neg_lo:[0,1] neg_hi:[0,1]
	v_pk_add_f32 v[24:25], v[28:29], v[14:15] op_sel:[0,1] op_sel_hi:[1,0] neg_lo:[0,1] neg_hi:[0,1]
	v_pk_add_f32 v[14:15], v[28:29], v[14:15] op_sel:[0,1] op_sel_hi:[1,0]
	v_pk_mul_f32 v[28:29], v[36:37], s[4:5] op_sel_hi:[1,0]
	ds_write_b64 v66, v[2:3] offset:2176
	ds_write_b64 v66, v[12:13] offset:6496
	;; [unrolled: 1-line block ×3, first 2 shown]
	v_pk_add_f32 v[2:3], v[58:59], v[62:63]
	ds_write2_b64 v6, v[0:1], v[4:5] offset1:1
	v_pk_add_f32 v[0:1], v[58:59], v[62:63] neg_lo:[0,1] neg_hi:[0,1]
	v_pk_fma_f32 v[40:41], v[40:41], 0.5, v[44:45] op_sel_hi:[1,0,1] neg_lo:[1,0,0] neg_hi:[1,0,0]
	v_pk_add_f32 v[34:35], v[32:33], v[28:29] op_sel:[0,1] op_sel_hi:[1,0] neg_lo:[0,1] neg_hi:[0,1]
	v_pk_add_f32 v[28:29], v[32:33], v[28:29] op_sel:[0,1] op_sel_hi:[1,0]
	v_pk_mul_f32 v[32:33], v[46:47], s[4:5] op_sel_hi:[1,0]
	v_add_u32_e32 v22, 0x2a38, v66
	v_pk_fma_f32 v[2:3], v[2:3], 0.5, v[54:55] op_sel_hi:[1,0,1] neg_lo:[1,0,0] neg_hi:[1,0,0]
	v_pk_mul_f32 v[0:1], v[0:1], s[4:5] op_sel_hi:[1,0]
	v_mov_b32_e32 v6, v24
	v_mov_b32_e32 v7, v15
	v_mov_b32_e32 v15, v25
	v_pk_add_f32 v[38:39], v[44:45], v[48:49]
	v_pk_add_f32 v[30:31], v[30:31], v[50:51]
	v_pk_add_f32 v[36:37], v[40:41], v[32:33] op_sel:[0,1] op_sel_hi:[1,0] neg_lo:[0,1] neg_hi:[0,1]
	v_pk_add_f32 v[32:33], v[40:41], v[32:33] op_sel:[0,1] op_sel_hi:[1,0]
	v_add_u32_e32 v12, 0x32a8, v66
	v_pk_add_f32 v[4:5], v[2:3], v[0:1] op_sel:[0,1] op_sel_hi:[1,0] neg_lo:[0,1] neg_hi:[0,1]
	v_pk_add_f32 v[0:1], v[2:3], v[0:1] op_sel:[0,1] op_sel_hi:[1,0]
	v_pk_add_f32 v[2:3], v[54:55], v[58:59]
	ds_write_b64 v66, v[26:27] offset:10800
	ds_write2_b64 v22, v[6:7], v[14:15] offset1:1
	ds_write_b64 v66, v[30:31] offset:12960
	v_mov_b32_e32 v6, v34
	v_mov_b32_e32 v7, v29
	;; [unrolled: 1-line block ×3, first 2 shown]
	v_pk_add_f32 v[38:39], v[38:39], v[52:53]
	v_add_u32_e32 v13, 0x3b18, v66
	v_pk_add_f32 v[2:3], v[2:3], v[62:63]
	ds_write2_b64 v12, v[6:7], v[28:29] offset1:1
	ds_write_b64 v66, v[38:39] offset:15120
	v_mov_b32_e32 v6, v36
	v_mov_b32_e32 v7, v33
	;; [unrolled: 1-line block ×3, first 2 shown]
	v_add_u32_e32 v10, 0x4388, v66
	v_pk_add_f32 v[8:9], v[56:57], v[60:61]
	ds_write2_b64 v13, v[6:7], v[32:33] offset1:1
	ds_write_b64 v66, v[2:3] offset:17280
	v_mov_b32_e32 v2, v4
	v_mov_b32_e32 v3, v1
	;; [unrolled: 1-line block ×3, first 2 shown]
	v_pk_add_f32 v[8:9], v[8:9], v[64:65]
	ds_write2_b64 v10, v[2:3], v[0:1] offset1:1
	ds_write_b64 v66, v[8:9] offset:19440
	v_pk_add_f32 v[0:1], v[60:61], v[64:65]
	v_pk_add_f32 v[2:3], v[60:61], v[64:65] neg_lo:[0,1] neg_hi:[0,1]
	v_pk_fma_f32 v[0:1], v[0:1], 0.5, v[56:57] op_sel_hi:[1,0,1] neg_lo:[1,0,0] neg_hi:[1,0,0]
	v_pk_mul_f32 v[2:3], v[2:3], s[4:5] op_sel_hi:[1,0]
	v_add_u32_e32 v6, 0x4bf8, v66
	v_pk_add_f32 v[4:5], v[0:1], v[2:3] op_sel:[0,1] op_sel_hi:[1,0] neg_lo:[0,1] neg_hi:[0,1]
	v_pk_add_f32 v[0:1], v[0:1], v[2:3] op_sel:[0,1] op_sel_hi:[1,0]
	v_mov_b32_e32 v2, v4
	v_mov_b32_e32 v3, v1
	;; [unrolled: 1-line block ×3, first 2 shown]
	ds_write2_b64 v6, v[2:3], v[0:1] offset1:1
	v_mul_lo_u16_sdwa v1, v105, s10 dst_sel:DWORD dst_unused:UNUSED_PAD src0_sel:BYTE_0 src1_sel:DWORD
	v_lshrrev_b16_e32 v110, 9, v1
	v_mul_lo_u16_sdwa v0, v18, s10 dst_sel:DWORD dst_unused:UNUSED_PAD src0_sel:BYTE_0 src1_sel:DWORD
	v_mul_lo_u16_e32 v1, 3, v110
	s_mov_b32 s10, 0xaaab
	v_sub_u16_e32 v111, v105, v1
	v_mul_u32_u24_sdwa v1, v104, s10 dst_sel:DWORD dst_unused:UNUSED_PAD src0_sel:WORD_0 src1_sel:DWORD
	v_lshrrev_b32_e32 v108, 17, v1
	v_mul_lo_u16_e32 v1, 3, v108
	v_sub_u16_e32 v109, v104, v1
	v_mul_u32_u24_e32 v1, 9, v109
	v_lshlrev_b32_e32 v14, 3, v1
	v_mul_u32_u24_sdwa v1, v111, v107 dst_sel:DWORD dst_unused:UNUSED_PAD src0_sel:BYTE_0 src1_sel:DWORD
	s_waitcnt lgkmcnt(0)
	s_barrier
	global_load_dwordx2 v[4:5], v14, s[8:9] offset:64
	v_lshlrev_b32_e32 v12, 3, v1
	global_load_dwordx2 v[10:11], v12, s[8:9] offset:64
	v_lshrrev_b16_e32 v106, 9, v0
	v_mul_lo_u16_e32 v0, 3, v106
	v_sub_u16_e32 v112, v18, v0
	v_mul_u32_u24_sdwa v0, v112, v107 dst_sel:DWORD dst_unused:UNUSED_PAD src0_sel:BYTE_0 src1_sel:DWORD
	v_lshlrev_b32_e32 v24, 3, v0
	global_load_dwordx2 v[8:9], v24, s[8:9] offset:64
	global_load_dwordx4 v[0:3], v14, s[8:9] offset:48
	global_load_dwordx4 v[34:37], v12, s[8:9] offset:48
	;; [unrolled: 1-line block ×8, first 2 shown]
	ds_read2_b64 v[26:29], v95 offset0:88 offset1:178
	ds_read2_b64 v[30:33], v92 offset0:36 offset1:126
	global_load_dwordx4 v[118:121], v12, s[8:9]
	global_load_dwordx4 v[122:125], v24, s[8:9] offset:16
	ds_read2_b64 v[126:129], v97 offset0:84 offset1:174
	s_mov_b32 s10, 0x3e9e377a
	s_mov_b32 s11, 0x3f167918
	;; [unrolled: 1-line block ×7, first 2 shown]
	s_waitcnt vmcnt(12) lgkmcnt(2)
	v_pk_mul_f32 v[22:23], v[28:29], v[4:5] op_sel:[0,1]
	s_nop 0
	v_pk_fma_f32 v[6:7], v[28:29], v[4:5], v[22:23] op_sel:[0,0,1] op_sel_hi:[1,1,0]
	v_pk_fma_f32 v[4:5], v[28:29], v[4:5], v[22:23] op_sel:[0,0,1] op_sel_hi:[1,0,0] neg_lo:[0,0,1] neg_hi:[0,0,1]
	s_waitcnt vmcnt(11)
	v_pk_mul_f32 v[22:23], v[26:27], v[10:11] op_sel:[0,1]
	s_waitcnt vmcnt(9)
	v_mov_b32_e32 v4, v3
	v_pk_fma_f32 v[44:45], v[26:27], v[10:11], v[22:23] op_sel:[0,0,1] op_sel_hi:[1,1,0]
	v_pk_fma_f32 v[42:43], v[26:27], v[10:11], v[22:23] op_sel:[0,0,1] op_sel_hi:[1,0,0] neg_lo:[0,0,1] neg_hi:[0,0,1]
	s_waitcnt lgkmcnt(1)
	v_pk_mul_f32 v[10:11], v[32:33], v[8:9] op_sel:[0,1]
	v_pk_mul_f32 v[22:23], v[30:31], v[4:5] op_sel_hi:[1,0]
	v_pk_fma_f32 v[82:83], v[32:33], v[8:9], v[10:11] op_sel:[0,0,1] op_sel_hi:[1,1,0]
	v_pk_fma_f32 v[80:81], v[32:33], v[8:9], v[10:11] op_sel:[0,0,1] op_sel_hi:[1,0,0] neg_lo:[0,0,1] neg_hi:[0,0,1]
	ds_read2_b64 v[10:13], v98 offset0:60 offset1:150
	v_pk_fma_f32 v[8:9], v[30:31], v[2:3], v[22:23] op_sel:[0,0,1] op_sel_hi:[1,1,0]
	v_pk_fma_f32 v[32:33], v[30:31], v[2:3], v[22:23] op_sel:[0,0,1] op_sel_hi:[1,0,0] neg_lo:[0,0,1] neg_hi:[0,0,1]
	s_waitcnt vmcnt(8)
	v_mov_b32_e32 v4, v37
	v_mov_b32_e32 v83, v81
	s_waitcnt lgkmcnt(0)
	v_pk_mul_f32 v[2:3], v[12:13], v[0:1] op_sel:[0,1]
	v_pk_mul_f32 v[22:23], v[10:11], v[34:35] op_sel:[0,1]
	v_pk_fma_f32 v[28:29], v[12:13], v[0:1], v[2:3] op_sel:[0,0,1] op_sel_hi:[1,1,0]
	v_pk_fma_f32 v[12:13], v[12:13], v[0:1], v[2:3] op_sel:[0,0,1] op_sel_hi:[1,0,0] neg_lo:[0,0,1] neg_hi:[0,0,1]
	ds_read2_b64 v[0:3], v19 offset0:112 offset1:202
	v_pk_fma_f32 v[62:63], v[10:11], v[34:35], v[22:23] op_sel:[0,0,1] op_sel_hi:[1,1,0]
	v_pk_fma_f32 v[50:51], v[10:11], v[34:35], v[22:23] op_sel:[0,0,1] op_sel_hi:[1,0,0] neg_lo:[0,0,1] neg_hi:[0,0,1]
	v_mov_b32_e32 v45, v43
	v_mov_b32_e32 v63, v51
	s_waitcnt lgkmcnt(0)
	v_pk_mul_f32 v[10:11], v[2:3], v[4:5] op_sel_hi:[1,0]
	s_waitcnt vmcnt(6)
	v_mov_b32_e32 v4, v55
	v_pk_fma_f32 v[48:49], v[2:3], v[36:37], v[10:11] op_sel:[0,0,1] op_sel_hi:[1,1,0]
	v_pk_fma_f32 v[68:69], v[2:3], v[36:37], v[10:11] op_sel:[0,0,1] op_sel_hi:[1,0,0] neg_lo:[0,0,1] neg_hi:[0,0,1]
	ds_read2_b64 v[34:37], v101 offset0:8 offset1:98
	v_mov_b32_e32 v2, v41
	v_pk_mul_f32 v[2:3], v[0:1], v[2:3] op_sel_hi:[1,0]
	v_mov_b32_e32 v49, v69
	v_pk_fma_f32 v[86:87], v[0:1], v[40:41], v[2:3] op_sel:[0,0,1] op_sel_hi:[1,1,0]
	v_pk_fma_f32 v[132:133], v[0:1], v[40:41], v[2:3] op_sel:[0,0,1] op_sel_hi:[1,0,0] neg_lo:[0,0,1] neg_hi:[0,0,1]
	s_waitcnt lgkmcnt(0)
	v_pk_mul_f32 v[0:1], v[36:37], v[38:39] op_sel:[0,1]
	v_pk_mul_f32 v[22:23], v[34:35], v[4:5] op_sel_hi:[1,0]
	v_pk_fma_f32 v[134:135], v[36:37], v[38:39], v[0:1] op_sel:[0,0,1] op_sel_hi:[1,1,0]
	v_pk_fma_f32 v[88:89], v[36:37], v[38:39], v[0:1] op_sel:[0,0,1] op_sel_hi:[1,0,0] neg_lo:[0,0,1] neg_hi:[0,0,1]
	ds_read2_b64 v[0:3], v93 offset0:160 offset1:250
	v_pk_fma_f32 v[10:11], v[34:35], v[54:55], v[22:23] op_sel:[0,0,1] op_sel_hi:[1,1,0]
	v_pk_fma_f32 v[38:39], v[34:35], v[54:55], v[22:23] op_sel:[0,0,1] op_sel_hi:[1,0,0] neg_lo:[0,0,1] neg_hi:[0,0,1]
	s_waitcnt vmcnt(4)
	v_mov_b32_e32 v4, v67
	v_mov_b32_e32 v135, v89
	s_waitcnt lgkmcnt(0)
	v_pk_mul_f32 v[22:23], v[2:3], v[52:53] op_sel:[0,1]
	v_mov_b32_e32 v87, v133
	v_pk_fma_f32 v[36:37], v[2:3], v[52:53], v[22:23] op_sel:[0,0,1] op_sel_hi:[1,1,0]
	v_pk_fma_f32 v[34:35], v[2:3], v[52:53], v[22:23] op_sel:[0,0,1] op_sel_hi:[1,0,0] neg_lo:[0,0,1] neg_hi:[0,0,1]
	v_pk_mul_f32 v[2:3], v[0:1], v[56:57] op_sel:[0,1]
	v_mov_b32_e32 v69, v62
	v_pk_fma_f32 v[72:73], v[0:1], v[56:57], v[2:3] op_sel:[0,0,1] op_sel_hi:[1,1,0]
	v_pk_fma_f32 v[70:71], v[0:1], v[56:57], v[2:3] op_sel:[0,0,1] op_sel_hi:[1,0,0] neg_lo:[0,0,1] neg_hi:[0,0,1]
	v_mov_b32_e32 v0, v59
	v_pk_mul_f32 v[0:1], v[128:129], v[0:1] op_sel_hi:[1,0]
	v_mov_b32_e32 v68, v72
	v_pk_fma_f32 v[54:55], v[128:129], v[58:59], v[0:1] op_sel:[0,0,1] op_sel_hi:[1,1,0]
	v_pk_fma_f32 v[74:75], v[128:129], v[58:59], v[0:1] op_sel:[0,0,1] op_sel_hi:[1,0,0] neg_lo:[0,0,1] neg_hi:[0,0,1]
	ds_read2_b64 v[0:3], v91 offset0:108 offset1:198
	global_load_dwordx4 v[128:131], v14, s[8:9]
	ds_read2_b64 v[56:59], v102 offset0:132 offset1:222
	v_pk_mul_f32 v[14:15], v[126:127], v[4:5] op_sel_hi:[1,0]
	s_waitcnt vmcnt(3)
	v_mov_b32_e32 v4, v117
	v_pk_fma_f32 v[136:137], v[126:127], v[66:67], v[14:15] op_sel:[0,0,1] op_sel_hi:[1,1,0]
	v_pk_fma_f32 v[126:127], v[126:127], v[66:67], v[14:15] op_sel:[0,0,1] op_sel_hi:[1,0,0] neg_lo:[0,0,1] neg_hi:[0,0,1]
	s_waitcnt lgkmcnt(1)
	v_pk_mul_f32 v[14:15], v[2:3], v[64:65] op_sel:[0,1]
	s_waitcnt lgkmcnt(0)
	v_pk_mul_f32 v[26:27], v[56:57], v[114:115] op_sel:[0,1]
	v_pk_fma_f32 v[138:139], v[2:3], v[64:65], v[14:15] op_sel:[0,0,1] op_sel_hi:[1,1,0]
	v_pk_fma_f32 v[140:141], v[2:3], v[64:65], v[14:15] op_sel:[0,0,1] op_sel_hi:[1,0,0] neg_lo:[0,0,1] neg_hi:[0,0,1]
	v_mov_b32_e32 v2, v79
	v_pk_mul_f32 v[2:3], v[0:1], v[2:3] op_sel_hi:[1,0]
	v_pk_fma_f32 v[60:61], v[56:57], v[114:115], v[26:27] op_sel:[0,0,1] op_sel_hi:[1,1,0]
	v_pk_fma_f32 v[14:15], v[0:1], v[78:79], v[2:3] op_sel:[0,0,1] op_sel_hi:[1,1,0]
	v_pk_fma_f32 v[46:47], v[0:1], v[78:79], v[2:3] op_sel:[0,0,1] op_sel_hi:[1,0,0] neg_lo:[0,0,1] neg_hi:[0,0,1]
	v_pk_mul_f32 v[0:1], v[58:59], v[76:77] op_sel:[0,1]
	v_mov_b32_e32 v137, v127
	v_pk_fma_f32 v[22:23], v[58:59], v[76:77], v[0:1] op_sel:[0,0,1] op_sel_hi:[1,1,0]
	v_pk_fma_f32 v[40:41], v[58:59], v[76:77], v[0:1] op_sel:[0,0,1] op_sel_hi:[1,0,0] neg_lo:[0,0,1] neg_hi:[0,0,1]
	ds_read2_b64 v[0:3], v100 offset0:56 offset1:146
	v_pk_fma_f32 v[76:77], v[56:57], v[114:115], v[26:27] op_sel:[0,0,1] op_sel_hi:[1,0,0] neg_lo:[0,0,1] neg_hi:[0,0,1]
	v_mov_b32_e32 v139, v141
	v_mov_b32_e32 v88, v141
	v_pk_add_f32 v[132:133], v[138:139], v[134:135] neg_lo:[0,1] neg_hi:[0,1]
	s_waitcnt lgkmcnt(0)
	v_pk_mul_f32 v[26:27], v[2:3], v[4:5] op_sel_hi:[1,0]
	s_waitcnt vmcnt(2)
	v_mov_b32_e32 v4, v121
	v_pk_fma_f32 v[56:57], v[2:3], v[116:117], v[26:27] op_sel:[0,0,1] op_sel_hi:[1,1,0]
	v_pk_fma_f32 v[78:79], v[2:3], v[116:117], v[26:27] op_sel:[0,0,1] op_sel_hi:[1,0,0] neg_lo:[0,0,1] neg_hi:[0,0,1]
	global_load_dwordx4 v[114:117], v24, s[8:9]
	s_waitcnt vmcnt(2)
	v_mov_b32_e32 v2, v125
	v_pk_mul_f32 v[2:3], v[0:1], v[2:3] op_sel_hi:[1,0]
	v_mov_b32_e32 v55, v75
	v_pk_fma_f32 v[142:143], v[0:1], v[124:125], v[2:3] op_sel:[0,0,1] op_sel_hi:[1,1,0]
	v_pk_fma_f32 v[124:125], v[0:1], v[124:125], v[2:3] op_sel:[0,0,1] op_sel_hi:[1,0,0] neg_lo:[0,0,1] neg_hi:[0,0,1]
	ds_read2_b64 v[0:3], v99 offset0:80 offset1:170
	v_mov_b32_e32 v143, v125
	v_mov_b32_e32 v124, v138
	;; [unrolled: 1-line block ×3, first 2 shown]
	v_pk_add_f32 v[140:141], v[142:143], v[136:137]
	s_waitcnt lgkmcnt(0)
	v_pk_mul_f32 v[24:25], v[2:3], v[122:123] op_sel:[0,1]
	v_mov_b32_e32 v61, v77
	v_pk_fma_f32 v[144:145], v[2:3], v[122:123], v[24:25] op_sel:[0,0,1] op_sel_hi:[1,1,0]
	v_pk_fma_f32 v[122:123], v[2:3], v[122:123], v[24:25] op_sel:[0,0,1] op_sel_hi:[1,0,0] neg_lo:[0,0,1] neg_hi:[0,0,1]
	v_mov_b32_e32 v42, v77
	v_mov_b32_e32 v145, v123
	;; [unrolled: 1-line block ×6, first 2 shown]
	v_pk_add_f32 v[70:71], v[42:43], v[50:51] neg_lo:[0,1] neg_hi:[0,1]
	v_pk_add_f32 v[42:43], v[50:51], v[42:43] neg_lo:[0,1] neg_hi:[0,1]
	v_mov_b32_e32 v37, v35
	v_mov_b32_e32 v29, v13
	s_waitcnt vmcnt(1)
	v_mov_b32_e32 v2, v131
	v_pk_mul_f32 v[2:3], v[0:1], v[2:3] op_sel_hi:[1,0]
	s_nop 0
	v_pk_fma_f32 v[26:27], v[0:1], v[130:131], v[2:3] op_sel:[0,0,1] op_sel_hi:[1,1,0]
	v_pk_fma_f32 v[52:53], v[0:1], v[130:131], v[2:3] op_sel:[0,0,1] op_sel_hi:[1,0,0] neg_lo:[0,0,1] neg_hi:[0,0,1]
	ds_read2_b64 v[0:3], v96 offset0:104 offset1:194
	v_pk_add_f32 v[130:131], v[138:139], v[134:135]
	v_mov_b32_e32 v27, v53
	s_waitcnt lgkmcnt(0)
	v_pk_mul_f32 v[24:25], v[2:3], v[128:129] op_sel:[0,1]
	s_nop 0
	v_pk_fma_f32 v[30:31], v[2:3], v[128:129], v[24:25] op_sel:[0,0,1] op_sel_hi:[1,0,0]
	v_pk_fma_f32 v[24:25], v[2:3], v[128:129], v[24:25] op_sel:[0,0,1] op_sel_hi:[1,0,0] neg_lo:[0,0,1] neg_hi:[0,0,1]
	v_pk_mul_f32 v[2:3], v[0:1], v[118:119] op_sel:[0,1]
	v_mov_b32_e32 v31, v25
	v_pk_fma_f32 v[66:67], v[0:1], v[118:119], v[2:3] op_sel:[0,0,1] op_sel_hi:[1,0,0]
	v_pk_fma_f32 v[58:59], v[0:1], v[118:119], v[2:3] op_sel:[0,0,1] op_sel_hi:[1,0,0] neg_lo:[0,0,1] neg_hi:[0,0,1]
	ds_read2_b64 v[0:3], v94 offset0:28 offset1:118
	v_mov_b32_e32 v67, v59
	v_pk_add_f32 v[78:79], v[66:67], v[60:61]
	s_waitcnt lgkmcnt(0)
	v_pk_mul_f32 v[84:85], v[2:3], v[4:5] op_sel_hi:[1,0]
	s_nop 0
	v_pk_fma_f32 v[64:65], v[2:3], v[120:121], v[84:85] op_sel:[0,0,1] op_sel_hi:[1,1,0]
	v_pk_fma_f32 v[84:85], v[2:3], v[120:121], v[84:85] op_sel:[0,0,1] op_sel_hi:[1,0,0] neg_lo:[0,0,1] neg_hi:[0,0,1]
	v_pk_add_f32 v[78:79], v[78:79], v[72:73]
	v_mov_b32_e32 v65, v85
	v_pk_add_f32 v[76:77], v[64:65], v[56:57] neg_lo:[0,1] neg_hi:[0,1]
	s_waitcnt vmcnt(0)
	v_mov_b32_e32 v2, v117
	v_pk_mul_f32 v[2:3], v[0:1], v[2:3] op_sel_hi:[1,0]
	s_nop 0
	v_pk_fma_f32 v[118:119], v[0:1], v[116:117], v[2:3] op_sel:[0,0,1] op_sel_hi:[1,1,0]
	v_pk_fma_f32 v[116:117], v[0:1], v[116:117], v[2:3] op_sel:[0,0,1] op_sel_hi:[1,0,0] neg_lo:[0,0,1] neg_hi:[0,0,1]
	ds_read2_b64 v[0:3], v103 offset0:52 offset1:142
	v_mov_b32_e32 v119, v117
	v_pk_add_f32 v[116:117], v[86:87], v[136:137] neg_lo:[0,1] neg_hi:[0,1]
	v_pk_add_f32 v[146:147], v[118:119], v[86:87] neg_lo:[0,1] neg_hi:[0,1]
	s_waitcnt lgkmcnt(0)
	v_pk_mul_f32 v[120:121], v[114:115], v[2:3] op_sel:[0,1]
	s_nop 0
	v_pk_fma_f32 v[128:129], v[114:115], v[2:3], v[120:121] op_sel:[0,0,1] op_sel_hi:[1,0,0]
	v_pk_fma_f32 v[2:3], v[114:115], v[2:3], v[120:121] op_sel:[0,0,1] op_sel_hi:[1,0,0] neg_lo:[1,0,0] neg_hi:[1,0,0]
	v_mov_b32_e32 v120, v144
	v_mov_b32_e32 v121, v82
	v_pk_add_f32 v[114:115], v[120:121], v[124:125] neg_lo:[0,1] neg_hi:[0,1]
	v_mov_b32_e32 v129, v3
	v_mov_b32_e32 v2, v115
	v_pk_add_f32 v[126:127], v[114:115], v[2:3]
	v_pk_add_f32 v[114:115], v[128:129], v[144:145]
	v_fma_f32 v7, -0.5, v130, v128
	v_pk_add_f32 v[114:115], v[114:115], v[138:139]
	v_fma_f32 v9, -0.5, v131, v3
	v_pk_add_f32 v[134:135], v[114:115], v[134:135]
	v_pk_add_f32 v[114:115], v[80:81], v[88:89] neg_lo:[0,1] neg_hi:[0,1]
	v_mov_b32_e32 v127, v133
	v_mov_b32_e32 v2, v115
	v_pk_add_f32 v[122:123], v[114:115], v[2:3]
	v_pk_add_f32 v[114:115], v[118:119], v[142:143] neg_lo:[0,1] neg_hi:[0,1]
	v_pk_add_f32 v[130:131], v[144:145], v[82:83] neg_lo:[0,1] neg_hi:[0,1]
	v_pk_add_f32 v[138:139], v[114:115], v[116:117]
	ds_read2_b64 v[114:117], v90 offset1:90
	v_pk_mul_f32 v[126:127], v[126:127], s[10:11]
	v_fmamk_f32 v2, v131, 0xbf737871, v7
	v_mov_b32_e32 v123, v132
	v_pk_mul_f32 v[148:149], v[146:147], s[12:13] op_sel_hi:[1,0]
	s_waitcnt lgkmcnt(0)
	v_pk_fma_f32 v[140:141], v[140:141], 0.5, v[114:115] op_sel_hi:[1,0,1] neg_lo:[1,0,0] neg_hi:[1,0,0]
	v_sub_f32_e32 v4, v2, v127
	v_pk_mul_f32 v[122:123], v[122:123], s[10:11]
	v_fmamk_f32 v2, v130, 0x3f737871, v9
	v_pk_add_f32 v[150:151], v[140:141], v[148:149] op_sel:[0,1] op_sel_hi:[1,0] neg_lo:[0,1] neg_hi:[0,1]
	v_pk_add_f32 v[140:141], v[140:141], v[148:149] op_sel:[0,1] op_sel_hi:[1,0]
	v_pk_add_f32 v[148:149], v[142:143], v[136:137] neg_lo:[0,1] neg_hi:[0,1]
	v_add_f32_e32 v2, v123, v2
	v_pk_mul_f32 v[152:153], v[148:149], s[14:15] op_sel_hi:[1,0]
	v_add_f32_e32 v2, v122, v2
	v_pk_add_f32 v[140:141], v[140:141], v[152:153] op_sel:[0,1] op_sel_hi:[1,0]
	v_pk_add_f32 v[150:151], v[150:151], v[152:153] op_sel:[0,1] op_sel_hi:[1,0] neg_lo:[0,1] neg_hi:[0,1]
	v_pk_mul_f32 v[152:153], v[2:3], s[16:17] op_sel_hi:[0,1]
	v_add_f32_e32 v2, v126, v4
	v_pk_fma_f32 v[154:155], v[2:3], s[18:19], v[152:153] neg_lo:[0,0,1] neg_hi:[0,0,1]
	v_pk_fma_f32 v[152:153], v[2:3], s[18:19], v[152:153] op_sel_hi:[0,1,1]
	v_mul_u32_u24_e32 v2, 0xf0, v106
	v_mov_b32_e32 v106, 3
	v_lshlrev_b32_sdwa v4, v106, v112 dst_sel:DWORD dst_unused:UNUSED_PAD src0_sel:DWORD src1_sel:BYTE_0
	v_pk_add_f32 v[120:121], v[124:125], v[120:121] neg_lo:[0,1] neg_hi:[0,1]
	v_add3_u32 v11, 0, v2, v4
	v_pk_add_f32 v[112:113], v[114:115], v[118:119]
	v_pk_add_f32 v[134:135], v[134:135], v[82:83]
	;; [unrolled: 1-line block ×3, first 2 shown]
	v_mov_b32_e32 v2, v121
	v_pk_add_f32 v[80:81], v[88:89], v[80:81] neg_lo:[0,1] neg_hi:[0,1]
	v_pk_add_f32 v[112:113], v[112:113], v[142:143]
	v_pk_add_f32 v[120:121], v[120:121], v[2:3]
	v_fmac_f32_e32 v3, -0.5, v83
	v_mov_b32_e32 v2, v81
	v_pk_add_f32 v[112:113], v[112:113], v[136:137]
	v_mov_b32_e32 v4, v128
	v_pk_add_f32 v[80:81], v[80:81], v[2:3]
	v_pk_add_f32 v[112:113], v[112:113], v[86:87]
	v_fmac_f32_e32 v4, -0.5, v82
	v_pk_add_f32 v[82:83], v[142:143], v[118:119] neg_lo:[0,1] neg_hi:[0,1]
	v_pk_add_f32 v[88:89], v[118:119], v[86:87]
	v_pk_add_f32 v[86:87], v[136:137], v[86:87] neg_lo:[0,1] neg_hi:[0,1]
	v_mov_b32_e32 v121, v131
	v_mov_b32_e32 v81, v130
	v_fmamk_f32 v2, v133, 0x3f737871, v4
	v_fmamk_f32 v12, v132, 0xbf737871, v3
	v_pk_add_f32 v[82:83], v[82:83], v[86:87]
	v_pk_mul_f32 v[86:87], v[120:121], s[10:11]
	v_pk_mul_f32 v[80:81], v[80:81], s[10:11]
	v_sub_f32_e32 v15, v2, v87
	v_add_f32_e32 v2, v81, v12
	v_fmac_f32_e32 v3, 0x3f737871, v132
	s_mov_b32 s13, s10
	v_add_f32_e32 v2, v80, v2
	v_pk_mul_f32 v[118:119], v[2:3], s[12:13] op_sel_hi:[0,1]
	v_add_f32_e32 v2, v86, v15
	v_fmac_f32_e32 v4, 0xbf737871, v133
	v_pk_fma_f32 v[120:121], v[2:3], s[20:21], v[118:119] neg_lo:[0,0,1] neg_hi:[0,0,1]
	v_pk_fma_f32 v[118:119], v[2:3], s[20:21], v[118:119] op_sel_hi:[0,1,1]
	v_pk_fma_f32 v[88:89], v[88:89], 0.5, v[114:115] op_sel_hi:[1,0,1] neg_lo:[1,0,0] neg_hi:[1,0,0]
	v_pk_mul_f32 v[114:115], v[148:149], s[12:13] op_sel_hi:[1,0]
	v_sub_f32_e32 v3, v3, v81
	v_mov_b32_e32 v121, v119
	v_pk_add_f32 v[118:119], v[88:89], v[114:115] op_sel:[0,1] op_sel_hi:[1,0]
	v_pk_add_f32 v[88:89], v[88:89], v[114:115] op_sel:[0,1] op_sel_hi:[1,0] neg_lo:[0,1] neg_hi:[0,1]
	v_pk_mul_f32 v[114:115], v[146:147], s[14:15] op_sel_hi:[1,0]
	v_add_f32_e32 v2, v87, v4
	v_add_f32_e32 v4, v80, v3
	v_pk_add_f32 v[88:89], v[88:89], v[114:115] op_sel:[0,1] op_sel_hi:[1,0]
	v_pk_add_f32 v[114:115], v[118:119], v[114:115] op_sel:[0,1] op_sel_hi:[1,0] neg_lo:[0,1] neg_hi:[0,1]
	v_add_f32_e32 v2, v86, v2
	v_pk_mul_f32 v[80:81], v[4:5], s[12:13] op_sel_hi:[0,1]
	v_pk_fma_f32 v[2:3], v[2:3], s[22:23], v[80:81] op_sel_hi:[0,1,1] neg_lo:[0,0,1] neg_hi:[0,0,1]
	v_mov_b32_e32 v80, v114
	v_mov_b32_e32 v81, v89
	;; [unrolled: 1-line block ×3, first 2 shown]
	v_fmac_f32_e32 v7, 0x3f737871, v131
	v_fmac_f32_e32 v9, 0xbf737871, v130
	v_pk_fma_f32 v[80:81], v[82:83], s[10:11], v[80:81] op_sel_hi:[1,0,1]
	v_pk_fma_f32 v[82:83], v[82:83], s[10:11], v[88:89] op_sel_hi:[1,0,1]
	v_add_f32_e32 v4, v127, v7
	v_sub_f32_e32 v7, v9, v123
	v_pk_add_f32 v[86:87], v[80:81], v[120:121]
	v_pk_add_f32 v[88:89], v[82:83], v[2:3]
	v_add_f32_e32 v12, v122, v7
	v_mov_b32_e32 v155, v153
	s_barrier
	v_mov_b32_e32 v153, v141
	ds_write2_b64 v11, v[86:87], v[88:89] offset0:6 offset1:9
	v_add_f32_e32 v4, v126, v4
	v_pk_mul_f32 v[86:87], v[12:13], s[16:17] op_sel_hi:[0,1]
	v_mov_b32_e32 v141, v151
	v_mov_b32_e32 v152, v150
	v_pk_fma_f32 v[86:87], v[4:5], s[24:25], v[86:87] op_sel_hi:[0,1,1] neg_lo:[0,0,1] neg_hi:[0,0,1]
	v_pk_fma_f32 v[88:89], v[138:139], s[10:11], v[140:141] op_sel_hi:[1,0,1]
	v_pk_fma_f32 v[152:153], v[138:139], s[10:11], v[152:153] op_sel_hi:[1,0,1]
	v_pk_add_f32 v[156:157], v[112:113], v[134:135]
	v_pk_add_f32 v[112:113], v[112:113], v[134:135] neg_lo:[0,1] neg_hi:[0,1]
	v_pk_add_f32 v[114:115], v[88:89], v[86:87]
	ds_write2_b64 v11, v[114:115], v[112:113] offset0:12 offset1:15
	v_pk_add_f32 v[112:113], v[152:153], v[154:155] neg_lo:[0,1] neg_hi:[0,1]
	v_pk_add_f32 v[80:81], v[80:81], v[120:121] neg_lo:[0,1] neg_hi:[0,1]
	ds_write2_b64 v11, v[112:113], v[80:81] offset0:18 offset1:21
	v_pk_add_f32 v[2:3], v[82:83], v[2:3] neg_lo:[0,1] neg_hi:[0,1]
	v_pk_add_f32 v[80:81], v[88:89], v[86:87] neg_lo:[0,1] neg_hi:[0,1]
	ds_write2_b64 v11, v[2:3], v[80:81] offset0:24 offset1:27
	v_mov_b32_e32 v2, v60
	v_mov_b32_e32 v3, v44
	v_pk_add_f32 v[74:75], v[2:3], v[68:69] neg_lo:[0,1] neg_hi:[0,1]
	v_pk_add_f32 v[80:81], v[72:73], v[62:63]
	v_mov_b32_e32 v4, v75
	v_pk_add_f32 v[74:75], v[74:75], v[4:5]
	v_pk_add_f32 v[72:73], v[72:73], v[62:63] neg_lo:[0,1] neg_hi:[0,1]
	v_mov_b32_e32 v4, v71
	v_pk_add_f32 v[62:63], v[78:79], v[62:63]
	v_pk_add_f32 v[70:71], v[70:71], v[4:5]
	v_pk_add_f32 v[78:79], v[48:49], v[54:55] neg_lo:[0,1] neg_hi:[0,1]
	v_fma_f32 v7, -0.5, v80, v66
	v_fma_f32 v9, -0.5, v81, v59
	v_mov_b32_e32 v75, v73
	v_pk_add_f32 v[80:81], v[60:61], v[44:45] neg_lo:[0,1] neg_hi:[0,1]
	v_pk_add_f32 v[158:159], v[152:153], v[154:155]
	v_pk_add_f32 v[76:77], v[76:77], v[78:79]
	;; [unrolled: 1-line block ×3, first 2 shown]
	v_pk_add_f32 v[82:83], v[64:65], v[48:49] neg_lo:[0,1] neg_hi:[0,1]
	v_pk_mul_f32 v[74:75], v[74:75], s[10:11]
	v_fmamk_f32 v4, v81, 0xbf737871, v7
	v_mov_b32_e32 v71, v72
	ds_write2_b64 v11, v[156:157], v[158:159] offset1:3
	v_pk_fma_f32 v[78:79], v[78:79], 0.5, v[116:117] op_sel_hi:[1,0,1] neg_lo:[1,0,0] neg_hi:[1,0,0]
	v_pk_mul_f32 v[84:85], v[82:83], s[12:13] op_sel_hi:[1,0]
	v_sub_f32_e32 v11, v4, v75
	v_pk_mul_f32 v[70:71], v[70:71], s[10:11]
	v_fmamk_f32 v4, v80, 0x3f737871, v9
	v_pk_add_f32 v[86:87], v[78:79], v[84:85] op_sel:[0,1] op_sel_hi:[1,0] neg_lo:[0,1] neg_hi:[0,1]
	v_pk_add_f32 v[78:79], v[78:79], v[84:85] op_sel:[0,1] op_sel_hi:[1,0]
	v_pk_add_f32 v[84:85], v[56:57], v[54:55] neg_lo:[0,1] neg_hi:[0,1]
	v_add_f32_e32 v4, v71, v4
	v_pk_mul_f32 v[88:89], v[84:85], s[14:15] op_sel_hi:[1,0]
	v_add_f32_e32 v4, v70, v4
	v_pk_add_f32 v[78:79], v[78:79], v[88:89] op_sel:[0,1] op_sel_hi:[1,0]
	v_pk_add_f32 v[86:87], v[86:87], v[88:89] op_sel:[0,1] op_sel_hi:[1,0] neg_lo:[0,1] neg_hi:[0,1]
	v_pk_mul_f32 v[88:89], v[4:5], s[16:17] op_sel_hi:[0,1]
	v_add_f32_e32 v4, v74, v11
	v_pk_fma_f32 v[112:113], v[4:5], s[18:19], v[88:89] neg_lo:[0,0,1] neg_hi:[0,0,1]
	v_pk_fma_f32 v[88:89], v[4:5], s[18:19], v[88:89] op_sel_hi:[0,1,1]
	v_mul_u32_u24_e32 v4, 0xf0, v110
	v_lshlrev_b32_sdwa v11, v106, v111 dst_sel:DWORD dst_unused:UNUSED_PAD src0_sel:DWORD src1_sel:BYTE_0
	v_pk_add_f32 v[2:3], v[68:69], v[2:3] neg_lo:[0,1] neg_hi:[0,1]
	v_add3_u32 v23, 0, v4, v11
	v_mov_b32_e32 v4, v3
	v_mov_b32_e32 v113, v89
	v_pk_add_f32 v[88:89], v[116:117], v[64:65]
	v_pk_add_f32 v[2:3], v[2:3], v[4:5]
	v_mov_b32_e32 v4, v43
	v_pk_add_f32 v[88:89], v[88:89], v[56:57]
	v_pk_add_f32 v[62:63], v[62:63], v[44:45]
	;; [unrolled: 1-line block ×3, first 2 shown]
	v_mov_b32_e32 v11, v66
	v_pk_add_f32 v[42:43], v[42:43], v[4:5]
	v_pk_add_f32 v[88:89], v[88:89], v[54:55]
	v_mov_b32_e32 v110, v86
	v_mov_b32_e32 v111, v79
	v_fmac_f32_e32 v11, -0.5, v44
	v_fmac_f32_e32 v59, -0.5, v45
	v_mov_b32_e32 v3, v81
	v_mov_b32_e32 v43, v80
	v_pk_add_f32 v[88:89], v[88:89], v[48:49]
	v_pk_fma_f32 v[110:111], v[76:77], s[10:11], v[110:111] op_sel_hi:[1,0,1]
	v_fmamk_f32 v4, v73, 0x3f737871, v11
	v_fmamk_f32 v12, v72, 0xbf737871, v59
	v_pk_mul_f32 v[2:3], v[2:3], s[10:11]
	v_pk_mul_f32 v[42:43], v[42:43], s[10:11]
	v_pk_add_f32 v[114:115], v[88:89], v[62:63]
	v_pk_add_f32 v[118:119], v[110:111], v[112:113]
	v_sub_f32_e32 v15, v4, v3
	v_add_f32_e32 v4, v43, v12
	ds_write2_b64 v23, v[114:115], v[118:119] offset1:3
	v_pk_add_f32 v[114:115], v[64:65], v[48:49]
	v_pk_add_f32 v[44:45], v[56:57], v[64:65] neg_lo:[0,1] neg_hi:[0,1]
	v_pk_add_f32 v[48:49], v[54:55], v[48:49] neg_lo:[0,1] neg_hi:[0,1]
	v_add_f32_e32 v4, v42, v4
	v_fmac_f32_e32 v11, 0xbf737871, v73
	v_pk_add_f32 v[44:45], v[44:45], v[48:49]
	v_pk_mul_f32 v[48:49], v[4:5], s[12:13] op_sel_hi:[0,1]
	v_add_f32_e32 v4, v2, v15
	v_fmac_f32_e32 v59, 0x3f737871, v72
	v_pk_fma_f32 v[50:51], v[4:5], s[20:21], v[48:49] neg_lo:[0,0,1] neg_hi:[0,0,1]
	v_pk_fma_f32 v[48:49], v[4:5], s[20:21], v[48:49] op_sel_hi:[0,1,1]
	v_add_f32_e32 v3, v3, v11
	v_pk_fma_f32 v[114:115], v[114:115], 0.5, v[116:117] op_sel_hi:[1,0,1] neg_lo:[1,0,0] neg_hi:[1,0,0]
	v_mov_b32_e32 v51, v49
	v_pk_mul_f32 v[48:49], v[84:85], s[12:13] op_sel_hi:[1,0]
	v_add_f32_e32 v2, v2, v3
	v_sub_f32_e32 v3, v59, v43
	v_pk_add_f32 v[54:55], v[114:115], v[48:49] op_sel:[0,1] op_sel_hi:[1,0]
	v_pk_add_f32 v[48:49], v[114:115], v[48:49] op_sel:[0,1] op_sel_hi:[1,0] neg_lo:[0,1] neg_hi:[0,1]
	v_pk_mul_f32 v[56:57], v[82:83], s[14:15] op_sel_hi:[1,0]
	v_add_f32_e32 v4, v42, v3
	v_pk_add_f32 v[48:49], v[48:49], v[56:57] op_sel:[0,1] op_sel_hi:[1,0]
	v_pk_add_f32 v[54:55], v[54:55], v[56:57] op_sel:[0,1] op_sel_hi:[1,0] neg_lo:[0,1] neg_hi:[0,1]
	v_pk_mul_f32 v[42:43], v[4:5], s[12:13] op_sel_hi:[0,1]
	v_pk_fma_f32 v[2:3], v[2:3], s[22:23], v[42:43] op_sel_hi:[0,1,1] neg_lo:[0,0,1] neg_hi:[0,0,1]
	v_mov_b32_e32 v42, v54
	v_mov_b32_e32 v43, v49
	;; [unrolled: 1-line block ×3, first 2 shown]
	v_fmac_f32_e32 v7, 0x3f737871, v81
	v_fmac_f32_e32 v9, 0xbf737871, v80
	v_pk_fma_f32 v[42:43], v[44:45], s[10:11], v[42:43] op_sel_hi:[1,0,1]
	v_pk_fma_f32 v[44:45], v[44:45], s[10:11], v[48:49] op_sel_hi:[1,0,1]
	v_add_f32_e32 v4, v75, v7
	v_sub_f32_e32 v7, v9, v71
	v_pk_add_f32 v[48:49], v[42:43], v[50:51]
	v_pk_add_f32 v[54:55], v[44:45], v[2:3]
	v_add_f32_e32 v12, v70, v7
	ds_write2_b64 v23, v[48:49], v[54:55] offset0:6 offset1:9
	v_add_f32_e32 v4, v74, v4
	v_pk_mul_f32 v[48:49], v[12:13], s[16:17] op_sel_hi:[0,1]
	v_mov_b32_e32 v79, v87
	v_pk_fma_f32 v[48:49], v[4:5], s[24:25], v[48:49] op_sel_hi:[0,1,1] neg_lo:[0,0,1] neg_hi:[0,0,1]
	v_pk_fma_f32 v[54:55], v[76:77], s[10:11], v[78:79] op_sel_hi:[1,0,1]
	v_mov_b32_e32 v9, v33
	v_pk_add_f32 v[2:3], v[44:45], v[2:3] neg_lo:[0,1] neg_hi:[0,1]
	v_pk_add_f32 v[32:33], v[54:55], v[48:49] neg_lo:[0,1] neg_hi:[0,1]
	ds_write2_b64 v23, v[2:3], v[32:33] offset0:24 offset1:27
	v_mov_b32_e32 v2, v22
	v_mov_b32_e32 v3, v6
	;; [unrolled: 1-line block ×4, first 2 shown]
	v_pk_add_f32 v[56:57], v[88:89], v[62:63] neg_lo:[0,1] neg_hi:[0,1]
	v_pk_add_f32 v[58:59], v[54:55], v[48:49]
	v_mov_b32_e32 v11, v39
	v_pk_add_f32 v[38:39], v[2:3], v[32:33] neg_lo:[0,1] neg_hi:[0,1]
	ds_write2_b64 v23, v[58:59], v[56:57] offset0:12 offset1:15
	v_pk_add_f32 v[56:57], v[110:111], v[112:113] neg_lo:[0,1] neg_hi:[0,1]
	v_pk_add_f32 v[42:43], v[42:43], v[50:51] neg_lo:[0,1] neg_hi:[0,1]
	v_mov_b32_e32 v4, v39
	ds_write2_b64 v23, v[56:57], v[42:43] offset0:18 offset1:21
	v_pk_add_f32 v[38:39], v[38:39], v[4:5]
	v_mov_b32_e32 v23, v41
	v_mov_b32_e32 v4, v41
	;; [unrolled: 1-line block ×3, first 2 shown]
	v_pk_add_f32 v[42:43], v[30:31], v[22:23]
	v_pk_add_f32 v[34:35], v[4:5], v[12:13] neg_lo:[0,1] neg_hi:[0,1]
	v_mov_b32_e32 v15, v47
	v_pk_add_f32 v[42:43], v[42:43], v[36:37]
	v_pk_add_f32 v[44:45], v[36:37], v[28:29]
	v_pk_add_f32 v[36:37], v[36:37], v[28:29] neg_lo:[0,1] neg_hi:[0,1]
	v_mov_b32_e32 v24, v35
	v_mov_b32_e32 v7, v5
	v_pk_add_f32 v[28:29], v[42:43], v[28:29]
	v_pk_add_f32 v[34:35], v[34:35], v[24:25]
	v_pk_add_f32 v[40:41], v[26:27], v[14:15] neg_lo:[0,1] neg_hi:[0,1]
	v_pk_add_f32 v[42:43], v[8:9], v[10:11] neg_lo:[0,1] neg_hi:[0,1]
	v_fma_f32 v31, -0.5, v44, v30
	v_fma_f32 v62, -0.5, v45, v25
	v_mov_b32_e32 v39, v37
	v_pk_add_f32 v[44:45], v[22:23], v[6:7] neg_lo:[0,1] neg_hi:[0,1]
	v_pk_add_f32 v[40:41], v[40:41], v[42:43]
	v_pk_add_f32 v[42:43], v[14:15], v[10:11]
	v_pk_add_f32 v[46:47], v[26:27], v[8:9] neg_lo:[0,1] neg_hi:[0,1]
	v_pk_mul_f32 v[38:39], v[38:39], s[10:11]
	v_fmamk_f32 v24, v45, 0xbf737871, v31
	v_mov_b32_e32 v35, v36
	v_pk_fma_f32 v[42:43], v[42:43], 0.5, v[0:1] op_sel_hi:[1,0,1] neg_lo:[1,0,0] neg_hi:[1,0,0]
	v_pk_mul_f32 v[48:49], v[46:47], s[12:13] op_sel_hi:[1,0]
	v_sub_f32_e32 v54, v24, v39
	v_pk_mul_f32 v[34:35], v[34:35], s[10:11]
	v_fmamk_f32 v24, v44, 0x3f737871, v62
	v_pk_add_f32 v[50:51], v[42:43], v[48:49] op_sel:[0,1] op_sel_hi:[1,0] neg_lo:[0,1] neg_hi:[0,1]
	v_pk_add_f32 v[42:43], v[42:43], v[48:49] op_sel:[0,1] op_sel_hi:[1,0]
	v_pk_add_f32 v[48:49], v[14:15], v[10:11] neg_lo:[0,1] neg_hi:[0,1]
	v_add_f32_e32 v24, v35, v24
	v_pk_mul_f32 v[52:53], v[48:49], s[14:15] op_sel_hi:[1,0]
	v_add_f32_e32 v24, v34, v24
	v_pk_add_f32 v[42:43], v[42:43], v[52:53] op_sel:[0,1] op_sel_hi:[1,0]
	v_pk_add_f32 v[50:51], v[50:51], v[52:53] op_sel:[0,1] op_sel_hi:[1,0] neg_lo:[0,1] neg_hi:[0,1]
	v_pk_mul_f32 v[52:53], v[24:25], s[16:17] op_sel_hi:[0,1]
	v_add_f32_e32 v24, v38, v54
	v_pk_add_f32 v[2:3], v[32:33], v[2:3] neg_lo:[0,1] neg_hi:[0,1]
	v_pk_fma_f32 v[54:55], v[24:25], s[18:19], v[52:53] neg_lo:[0,0,1] neg_hi:[0,0,1]
	v_pk_fma_f32 v[52:53], v[24:25], s[18:19], v[52:53] op_sel_hi:[0,1,1]
	v_pk_add_f32 v[28:29], v[28:29], v[6:7]
	v_pk_add_f32 v[6:7], v[22:23], v[6:7]
	v_mov_b32_e32 v22, v3
	v_mul_u32_u24_e32 v24, 0xf0, v108
	v_lshlrev_b32_e32 v52, 3, v109
	v_pk_add_f32 v[2:3], v[2:3], v[22:23]
	v_mov_b32_e32 v22, v30
	v_pk_add_f32 v[4:5], v[12:13], v[4:5] neg_lo:[0,1] neg_hi:[0,1]
	v_mov_b32_e32 v55, v53
	v_add3_u32 v63, 0, v24, v52
	v_pk_add_f32 v[52:53], v[0:1], v[26:27]
	v_fmac_f32_e32 v22, -0.5, v6
	v_mov_b32_e32 v6, v5
	v_mov_b32_e32 v3, v45
	v_pk_add_f32 v[52:53], v[52:53], v[14:15]
	v_pk_add_f32 v[4:5], v[4:5], v[6:7]
	v_fmamk_f32 v13, v37, 0x3f737871, v22
	v_fmac_f32_e32 v22, 0xbf737871, v37
	v_pk_mul_f32 v[2:3], v[2:3], s[10:11]
	v_pk_add_f32 v[52:53], v[52:53], v[10:11]
	v_mov_b32_e32 v56, v50
	v_mov_b32_e32 v57, v43
	v_fmac_f32_e32 v25, -0.5, v7
	v_fmac_f32_e32 v62, 0xbf737871, v44
	v_mov_b32_e32 v5, v44
	v_sub_f32_e32 v13, v13, v3
	v_add_f32_e32 v3, v3, v22
	v_pk_add_f32 v[52:53], v[52:53], v[8:9]
	v_pk_fma_f32 v[56:57], v[40:41], s[10:11], v[56:57] op_sel_hi:[1,0,1]
	v_fmamk_f32 v23, v36, 0xbf737871, v25
	v_fmac_f32_e32 v25, 0x3f737871, v36
	v_pk_add_f32 v[6:7], v[14:15], v[26:27] neg_lo:[0,1] neg_hi:[0,1]
	v_add_f32_e32 v14, v2, v13
	v_add_f32_e32 v2, v2, v3
	v_sub_f32_e32 v3, v62, v35
	v_pk_mul_f32 v[4:5], v[4:5], s[10:11]
	v_pk_add_f32 v[58:59], v[52:53], v[28:29]
	v_pk_add_f32 v[60:61], v[56:57], v[54:55]
	v_add_f32_e32 v22, v34, v3
	v_sub_f32_e32 v3, v25, v5
	v_add_f32_e32 v5, v5, v23
	ds_write2_b64 v63, v[58:59], v[60:61] offset1:3
	v_pk_add_f32 v[58:59], v[26:27], v[8:9]
	v_add_f32_e32 v24, v4, v5
	v_pk_add_f32 v[8:9], v[10:11], v[8:9] neg_lo:[0,1] neg_hi:[0,1]
	v_pk_fma_f32 v[0:1], v[58:59], 0.5, v[0:1] op_sel_hi:[1,0,1] neg_lo:[1,0,0] neg_hi:[1,0,0]
	v_pk_add_f32 v[6:7], v[6:7], v[8:9]
	v_pk_mul_f32 v[8:9], v[24:25], s[12:13] op_sel_hi:[0,1]
	v_pk_fma_f32 v[10:11], v[14:15], s[20:21], v[8:9] neg_lo:[0,0,1] neg_hi:[0,0,1]
	v_pk_fma_f32 v[8:9], v[14:15], s[20:21], v[8:9] op_sel_hi:[0,1,1]
	v_mov_b32_e32 v11, v9
	v_pk_mul_f32 v[8:9], v[48:49], s[12:13] op_sel_hi:[1,0]
	v_pk_mul_f32 v[14:15], v[46:47], s[14:15] op_sel_hi:[1,0]
	v_pk_add_f32 v[24:25], v[0:1], v[8:9] op_sel:[0,1] op_sel_hi:[1,0]
	v_pk_add_f32 v[0:1], v[0:1], v[8:9] op_sel:[0,1] op_sel_hi:[1,0] neg_lo:[0,1] neg_hi:[0,1]
	v_add_f32_e32 v4, v4, v3
	v_pk_add_f32 v[0:1], v[0:1], v[14:15] op_sel:[0,1] op_sel_hi:[1,0]
	v_pk_add_f32 v[8:9], v[24:25], v[14:15] op_sel:[0,1] op_sel_hi:[1,0] neg_lo:[0,1] neg_hi:[0,1]
	v_mov_b32_e32 v15, v1
	v_mov_b32_e32 v14, v8
	v_pk_mul_f32 v[4:5], v[4:5], s[12:13] op_sel_hi:[0,1]
	v_mov_b32_e32 v1, v9
	v_fmac_f32_e32 v31, 0x3f737871, v45
	v_pk_fma_f32 v[14:15], v[6:7], s[10:11], v[14:15] op_sel_hi:[1,0,1]
	v_pk_fma_f32 v[2:3], v[2:3], s[22:23], v[4:5] op_sel_hi:[0,1,1] neg_lo:[0,0,1] neg_hi:[0,0,1]
	v_pk_fma_f32 v[0:1], v[6:7], s[10:11], v[0:1] op_sel_hi:[1,0,1]
	v_add_f32_e32 v12, v39, v31
	v_pk_add_f32 v[24:25], v[14:15], v[10:11]
	v_pk_add_f32 v[4:5], v[0:1], v[2:3]
	v_add_f32_e32 v12, v38, v12
	ds_write2_b64 v63, v[24:25], v[4:5] offset0:6 offset1:9
	v_pk_mul_f32 v[4:5], v[22:23], s[16:17] op_sel_hi:[0,1]
	v_mov_b32_e32 v43, v51
	v_pk_fma_f32 v[4:5], v[12:13], s[24:25], v[4:5] op_sel_hi:[0,1,1] neg_lo:[0,0,1] neg_hi:[0,0,1]
	v_pk_fma_f32 v[6:7], v[40:41], s[10:11], v[42:43] op_sel_hi:[1,0,1]
	v_pk_add_f32 v[0:1], v[0:1], v[2:3] neg_lo:[0,1] neg_hi:[0,1]
	v_pk_add_f32 v[2:3], v[6:7], v[4:5] neg_lo:[0,1] neg_hi:[0,1]
	s_movk_i32 s15, 0x89
	ds_write2_b64 v63, v[0:1], v[2:3] offset0:24 offset1:27
	v_mul_lo_u16_sdwa v1, v105, s15 dst_sel:DWORD dst_unused:UNUSED_PAD src0_sel:BYTE_0 src1_sel:DWORD
	v_lshrrev_b16_e32 v88, 12, v1
	v_mul_lo_u16_sdwa v0, v18, s15 dst_sel:DWORD dst_unused:UNUSED_PAD src0_sel:BYTE_0 src1_sel:DWORD
	v_mul_lo_u16_e32 v1, 30, v88
	s_mov_b32 s15, 0x8889
	v_sub_u16_e32 v89, v105, v1
	v_mul_u32_u24_sdwa v1, v104, s15 dst_sel:DWORD dst_unused:UNUSED_PAD src0_sel:WORD_0 src1_sel:DWORD
	v_lshrrev_b32_e32 v86, 20, v1
	v_mul_lo_u16_e32 v1, 30, v86
	v_sub_u16_e32 v87, v104, v1
	v_pk_add_f32 v[8:9], v[6:7], v[4:5]
	v_pk_add_f32 v[12:13], v[52:53], v[28:29] neg_lo:[0,1] neg_hi:[0,1]
	v_mul_u32_u24_e32 v1, 9, v87
	ds_write2_b64 v63, v[8:9], v[12:13] offset0:12 offset1:15
	v_pk_add_f32 v[8:9], v[56:57], v[54:55] neg_lo:[0,1] neg_hi:[0,1]
	v_pk_add_f32 v[10:11], v[14:15], v[10:11] neg_lo:[0,1] neg_hi:[0,1]
	v_lshlrev_b32_e32 v14, 3, v1
	v_mul_u32_u24_sdwa v1, v89, v107 dst_sel:DWORD dst_unused:UNUSED_PAD src0_sel:BYTE_0 src1_sel:DWORD
	ds_write2_b64 v63, v[8:9], v[10:11] offset0:18 offset1:21
	s_waitcnt lgkmcnt(0)
	s_barrier
	global_load_dwordx2 v[4:5], v14, s[8:9] offset:280
	v_lshlrev_b32_e32 v15, 3, v1
	global_load_dwordx2 v[10:11], v15, s[8:9] offset:280
	v_lshrrev_b16_e32 v108, 12, v0
	v_mul_lo_u16_e32 v0, 30, v108
	v_sub_u16_e32 v109, v18, v0
	v_mul_u32_u24_sdwa v0, v109, v107 dst_sel:DWORD dst_unused:UNUSED_PAD src0_sel:BYTE_0 src1_sel:DWORD
	v_lshlrev_b32_e32 v22, 3, v0
	global_load_dwordx2 v[8:9], v22, s[8:9] offset:280
	global_load_dwordx4 v[0:3], v14, s[8:9] offset:264
	global_load_dwordx4 v[24:27], v15, s[8:9] offset:264
	;; [unrolled: 1-line block ×8, first 2 shown]
	ds_read2_b64 v[28:31], v95 offset0:88 offset1:178
	ds_read2_b64 v[38:41], v92 offset0:36 offset1:126
	global_load_dwordx4 v[118:121], v22, s[8:9] offset:232
	global_load_dwordx4 v[114:117], v15, s[8:9] offset:216
	;; [unrolled: 1-line block ×3, first 2 shown]
	s_waitcnt vmcnt(13) lgkmcnt(1)
	v_pk_mul_f32 v[12:13], v[30:31], v[4:5] op_sel:[0,1]
	s_nop 0
	v_pk_fma_f32 v[6:7], v[30:31], v[4:5], v[12:13] op_sel:[0,0,1] op_sel_hi:[1,1,0]
	v_pk_fma_f32 v[4:5], v[30:31], v[4:5], v[12:13] op_sel:[0,0,1] op_sel_hi:[1,0,0] neg_lo:[0,0,1] neg_hi:[0,0,1]
	s_waitcnt vmcnt(12)
	v_pk_mul_f32 v[12:13], v[28:29], v[10:11] op_sel:[0,1]
	s_waitcnt vmcnt(10)
	v_mov_b32_e32 v4, v3
	v_pk_fma_f32 v[44:45], v[28:29], v[10:11], v[12:13] op_sel:[0,0,1] op_sel_hi:[1,1,0]
	v_pk_fma_f32 v[42:43], v[28:29], v[10:11], v[12:13] op_sel:[0,0,1] op_sel_hi:[1,0,0] neg_lo:[0,0,1] neg_hi:[0,0,1]
	s_waitcnt lgkmcnt(0)
	v_pk_mul_f32 v[10:11], v[40:41], v[8:9] op_sel:[0,1]
	v_pk_mul_f32 v[28:29], v[38:39], v[4:5] op_sel_hi:[1,0]
	v_pk_fma_f32 v[82:83], v[40:41], v[8:9], v[10:11] op_sel:[0,0,1] op_sel_hi:[1,1,0]
	v_pk_fma_f32 v[80:81], v[40:41], v[8:9], v[10:11] op_sel:[0,0,1] op_sel_hi:[1,0,0] neg_lo:[0,0,1] neg_hi:[0,0,1]
	ds_read2_b64 v[10:13], v98 offset0:60 offset1:150
	v_pk_fma_f32 v[8:9], v[38:39], v[2:3], v[28:29] op_sel:[0,0,1] op_sel_hi:[1,1,0]
	v_pk_fma_f32 v[32:33], v[38:39], v[2:3], v[28:29] op_sel:[0,0,1] op_sel_hi:[1,0,0] neg_lo:[0,0,1] neg_hi:[0,0,1]
	s_waitcnt vmcnt(9)
	v_mov_b32_e32 v4, v27
	v_mov_b32_e32 v83, v81
	s_waitcnt lgkmcnt(0)
	v_pk_mul_f32 v[2:3], v[12:13], v[0:1] op_sel:[0,1]
	v_pk_mul_f32 v[30:31], v[10:11], v[24:25] op_sel:[0,1]
	v_pk_fma_f32 v[28:29], v[12:13], v[0:1], v[2:3] op_sel:[0,0,1] op_sel_hi:[1,1,0]
	v_pk_fma_f32 v[12:13], v[12:13], v[0:1], v[2:3] op_sel:[0,0,1] op_sel_hi:[1,0,0] neg_lo:[0,0,1] neg_hi:[0,0,1]
	ds_read2_b64 v[0:3], v19 offset0:112 offset1:202
	v_pk_fma_f32 v[62:63], v[10:11], v[24:25], v[30:31] op_sel:[0,0,1] op_sel_hi:[1,1,0]
	v_pk_fma_f32 v[50:51], v[10:11], v[24:25], v[30:31] op_sel:[0,0,1] op_sel_hi:[1,0,0] neg_lo:[0,0,1] neg_hi:[0,0,1]
	v_mov_b32_e32 v45, v43
	v_mov_b32_e32 v63, v51
	s_waitcnt lgkmcnt(0)
	v_pk_mul_f32 v[10:11], v[2:3], v[4:5] op_sel_hi:[1,0]
	s_waitcnt vmcnt(7)
	v_mov_b32_e32 v4, v55
	v_pk_fma_f32 v[48:49], v[2:3], v[26:27], v[10:11] op_sel:[0,0,1] op_sel_hi:[1,1,0]
	v_pk_fma_f32 v[68:69], v[2:3], v[26:27], v[10:11] op_sel:[0,0,1] op_sel_hi:[1,0,0] neg_lo:[0,0,1] neg_hi:[0,0,1]
	ds_read2_b64 v[24:27], v101 offset0:8 offset1:98
	v_mov_b32_e32 v2, v37
	v_pk_mul_f32 v[2:3], v[0:1], v[2:3] op_sel_hi:[1,0]
	v_mov_b32_e32 v49, v69
	v_pk_fma_f32 v[84:85], v[0:1], v[36:37], v[2:3] op_sel:[0,0,1] op_sel_hi:[1,1,0]
	v_pk_fma_f32 v[126:127], v[0:1], v[36:37], v[2:3] op_sel:[0,0,1] op_sel_hi:[1,0,0] neg_lo:[0,0,1] neg_hi:[0,0,1]
	s_waitcnt lgkmcnt(0)
	v_pk_mul_f32 v[0:1], v[26:27], v[34:35] op_sel:[0,1]
	v_mov_b32_e32 v85, v127
	v_pk_fma_f32 v[128:129], v[26:27], v[34:35], v[0:1] op_sel:[0,0,1] op_sel_hi:[1,1,0]
	v_pk_fma_f32 v[130:131], v[26:27], v[34:35], v[0:1] op_sel:[0,0,1] op_sel_hi:[1,0,0] neg_lo:[0,0,1] neg_hi:[0,0,1]
	ds_read2_b64 v[0:3], v93 offset0:160 offset1:250
	v_pk_mul_f32 v[26:27], v[24:25], v[4:5] op_sel_hi:[1,0]
	s_waitcnt vmcnt(5)
	v_mov_b32_e32 v4, v67
	v_pk_fma_f32 v[10:11], v[24:25], v[54:55], v[26:27] op_sel:[0,0,1] op_sel_hi:[1,1,0]
	v_pk_fma_f32 v[38:39], v[24:25], v[54:55], v[26:27] op_sel:[0,0,1] op_sel_hi:[1,0,0] neg_lo:[0,0,1] neg_hi:[0,0,1]
	s_waitcnt lgkmcnt(0)
	v_pk_mul_f32 v[24:25], v[2:3], v[52:53] op_sel:[0,1]
	v_mov_b32_e32 v129, v131
	v_pk_fma_f32 v[36:37], v[2:3], v[52:53], v[24:25] op_sel:[0,0,1] op_sel_hi:[1,1,0]
	v_pk_fma_f32 v[34:35], v[2:3], v[52:53], v[24:25] op_sel:[0,0,1] op_sel_hi:[1,0,0] neg_lo:[0,0,1] neg_hi:[0,0,1]
	ds_read2_b64 v[24:27], v97 offset0:84 offset1:174
	v_pk_mul_f32 v[2:3], v[0:1], v[56:57] op_sel:[0,1]
	v_mov_b32_e32 v69, v62
	v_pk_fma_f32 v[72:73], v[0:1], v[56:57], v[2:3] op_sel:[0,0,1] op_sel_hi:[1,1,0]
	v_pk_fma_f32 v[70:71], v[0:1], v[56:57], v[2:3] op_sel:[0,0,1] op_sel_hi:[1,0,0] neg_lo:[0,0,1] neg_hi:[0,0,1]
	v_mov_b32_e32 v0, v59
	s_waitcnt lgkmcnt(0)
	v_pk_mul_f32 v[0:1], v[26:27], v[0:1] op_sel_hi:[1,0]
	v_pk_mul_f32 v[14:15], v[24:25], v[4:5] op_sel_hi:[1,0]
	v_pk_fma_f32 v[54:55], v[26:27], v[58:59], v[0:1] op_sel:[0,0,1] op_sel_hi:[1,1,0]
	v_pk_fma_f32 v[74:75], v[26:27], v[58:59], v[0:1] op_sel:[0,0,1] op_sel_hi:[1,0,0] neg_lo:[0,0,1] neg_hi:[0,0,1]
	ds_read2_b64 v[0:3], v91 offset0:108 offset1:198
	ds_read2_b64 v[56:59], v102 offset0:132 offset1:222
	v_pk_fma_f32 v[132:133], v[24:25], v[66:67], v[14:15] op_sel:[0,0,1] op_sel_hi:[1,1,0]
	v_pk_fma_f32 v[134:135], v[24:25], v[66:67], v[14:15] op_sel:[0,0,1] op_sel_hi:[1,0,0] neg_lo:[0,0,1] neg_hi:[0,0,1]
	s_waitcnt vmcnt(3)
	v_mov_b32_e32 v4, v113
	s_waitcnt lgkmcnt(1)
	v_pk_mul_f32 v[14:15], v[2:3], v[64:65] op_sel:[0,1]
	s_waitcnt lgkmcnt(0)
	v_pk_mul_f32 v[26:27], v[56:57], v[110:111] op_sel:[0,1]
	v_pk_fma_f32 v[136:137], v[2:3], v[64:65], v[14:15] op_sel:[0,0,1] op_sel_hi:[1,1,0]
	v_pk_fma_f32 v[138:139], v[2:3], v[64:65], v[14:15] op_sel:[0,0,1] op_sel_hi:[1,0,0] neg_lo:[0,0,1] neg_hi:[0,0,1]
	v_mov_b32_e32 v2, v79
	v_pk_mul_f32 v[2:3], v[0:1], v[2:3] op_sel_hi:[1,0]
	v_pk_fma_f32 v[60:61], v[56:57], v[110:111], v[26:27] op_sel:[0,0,1] op_sel_hi:[1,1,0]
	v_pk_fma_f32 v[14:15], v[0:1], v[78:79], v[2:3] op_sel:[0,0,1] op_sel_hi:[1,1,0]
	v_pk_fma_f32 v[46:47], v[0:1], v[78:79], v[2:3] op_sel:[0,0,1] op_sel_hi:[1,0,0] neg_lo:[0,0,1] neg_hi:[0,0,1]
	v_pk_mul_f32 v[0:1], v[58:59], v[76:77] op_sel:[0,1]
	v_mov_b32_e32 v137, v139
	v_pk_fma_f32 v[24:25], v[58:59], v[76:77], v[0:1] op_sel:[0,0,1] op_sel_hi:[1,1,0]
	v_pk_fma_f32 v[40:41], v[58:59], v[76:77], v[0:1] op_sel:[0,0,1] op_sel_hi:[1,0,0] neg_lo:[0,0,1] neg_hi:[0,0,1]
	ds_read2_b64 v[0:3], v100 offset0:56 offset1:146
	v_pk_fma_f32 v[76:77], v[56:57], v[110:111], v[26:27] op_sel:[0,0,1] op_sel_hi:[1,0,0] neg_lo:[0,0,1] neg_hi:[0,0,1]
	v_mov_b32_e32 v130, v139
	v_mov_b32_e32 v133, v135
	v_pk_add_f32 v[134:135], v[136:137], v[128:129]
	s_waitcnt lgkmcnt(0)
	v_pk_mul_f32 v[26:27], v[2:3], v[4:5] op_sel_hi:[1,0]
	s_waitcnt vmcnt(1)
	v_mov_b32_e32 v4, v117
	v_pk_fma_f32 v[56:57], v[2:3], v[112:113], v[26:27] op_sel:[0,0,1] op_sel_hi:[1,1,0]
	v_pk_fma_f32 v[78:79], v[2:3], v[112:113], v[26:27] op_sel:[0,0,1] op_sel_hi:[1,0,0] neg_lo:[0,0,1] neg_hi:[0,0,1]
	global_load_dwordx4 v[110:113], v22, s[8:9] offset:216
	v_mov_b32_e32 v2, v121
	v_pk_mul_f32 v[2:3], v[0:1], v[2:3] op_sel_hi:[1,0]
	v_mov_b32_e32 v68, v72
	v_pk_fma_f32 v[140:141], v[0:1], v[120:121], v[2:3] op_sel:[0,0,1] op_sel_hi:[1,1,0]
	v_pk_fma_f32 v[120:121], v[0:1], v[120:121], v[2:3] op_sel:[0,0,1] op_sel_hi:[1,0,0] neg_lo:[0,0,1] neg_hi:[0,0,1]
	ds_read2_b64 v[0:3], v99 offset0:80 offset1:170
	v_mov_b32_e32 v141, v121
	v_mov_b32_e32 v121, v82
	v_pk_add_f32 v[144:145], v[140:141], v[132:133]
	v_mov_b32_e32 v55, v75
	s_waitcnt lgkmcnt(0)
	v_pk_mul_f32 v[22:23], v[118:119], v[2:3] op_sel:[0,1]
	v_mov_b32_e32 v61, v77
	v_pk_fma_f32 v[142:143], v[118:119], v[2:3], v[22:23] op_sel:[0,0,1] op_sel_hi:[1,1,0]
	v_pk_fma_f32 v[118:119], v[118:119], v[2:3], v[22:23] op_sel:[0,0,1] op_sel_hi:[1,0,0] neg_lo:[1,0,0] neg_hi:[1,0,0]
	s_waitcnt vmcnt(1)
	v_mov_b32_e32 v2, v125
	v_pk_mul_f32 v[2:3], v[0:1], v[2:3] op_sel_hi:[1,0]
	v_mov_b32_e32 v120, v142
	v_pk_fma_f32 v[22:23], v[0:1], v[124:125], v[2:3] op_sel:[0,0,1] op_sel_hi:[1,1,0]
	v_pk_fma_f32 v[52:53], v[0:1], v[124:125], v[2:3] op_sel:[0,0,1] op_sel_hi:[1,0,0] neg_lo:[0,0,1] neg_hi:[0,0,1]
	ds_read2_b64 v[0:3], v96 offset0:104 offset1:194
	v_mov_b32_e32 v143, v119
	v_mov_b32_e32 v80, v119
	;; [unrolled: 1-line block ×4, first 2 shown]
	s_waitcnt lgkmcnt(0)
	v_pk_mul_f32 v[26:27], v[2:3], v[122:123] op_sel:[0,1]
	v_mov_b32_e32 v57, v79
	v_pk_fma_f32 v[30:31], v[2:3], v[122:123], v[26:27] op_sel:[0,0,1] op_sel_hi:[1,0,0]
	v_pk_fma_f32 v[26:27], v[2:3], v[122:123], v[26:27] op_sel:[0,0,1] op_sel_hi:[1,0,0] neg_lo:[0,0,1] neg_hi:[0,0,1]
	v_pk_mul_f32 v[2:3], v[0:1], v[114:115] op_sel:[0,1]
	v_mov_b32_e32 v73, v71
	v_pk_fma_f32 v[66:67], v[0:1], v[114:115], v[2:3] op_sel:[0,0,1] op_sel_hi:[1,0,0]
	v_pk_fma_f32 v[58:59], v[0:1], v[114:115], v[2:3] op_sel:[0,0,1] op_sel_hi:[1,0,0] neg_lo:[0,0,1] neg_hi:[0,0,1]
	ds_read2_b64 v[0:3], v94 offset0:28 offset1:118
	v_mov_b32_e32 v67, v59
	v_pk_add_f32 v[78:79], v[66:67], v[60:61]
	v_pk_add_f32 v[70:71], v[42:43], v[50:51] neg_lo:[0,1] neg_hi:[0,1]
	v_pk_add_f32 v[78:79], v[78:79], v[72:73]
	s_waitcnt lgkmcnt(0)
	v_pk_mul_f32 v[114:115], v[2:3], v[4:5] op_sel_hi:[1,0]
	v_pk_add_f32 v[42:43], v[50:51], v[42:43] neg_lo:[0,1] neg_hi:[0,1]
	v_pk_fma_f32 v[64:65], v[2:3], v[116:117], v[114:115] op_sel:[0,0,1] op_sel_hi:[1,1,0]
	v_pk_fma_f32 v[114:115], v[2:3], v[116:117], v[114:115] op_sel:[0,0,1] op_sel_hi:[1,0,0] neg_lo:[0,0,1] neg_hi:[0,0,1]
	v_mov_b32_e32 v38, v24
	v_mov_b32_e32 v65, v115
	v_pk_add_f32 v[76:77], v[64:65], v[56:57] neg_lo:[0,1] neg_hi:[0,1]
	v_mov_b32_e32 v31, v27
	v_mov_b32_e32 v37, v35
	;; [unrolled: 1-line block ×4, first 2 shown]
	s_waitcnt vmcnt(0)
	v_pk_mul_f32 v[2:3], v[112:113], v[0:1] op_sel:[0,1]
	s_nop 0
	v_pk_fma_f32 v[116:117], v[112:113], v[0:1], v[2:3] op_sel:[0,0,1] op_sel_hi:[1,1,0]
	v_pk_fma_f32 v[112:113], v[112:113], v[0:1], v[2:3] op_sel:[0,0,1] op_sel_hi:[1,0,0] neg_lo:[1,0,0] neg_hi:[1,0,0]
	ds_read2_b64 v[0:3], v103 offset0:52 offset1:142
	v_mov_b32_e32 v117, v113
	v_pk_add_f32 v[112:113], v[84:85], v[132:133] neg_lo:[0,1] neg_hi:[0,1]
	v_pk_add_f32 v[146:147], v[116:117], v[84:85] neg_lo:[0,1] neg_hi:[0,1]
	s_waitcnt lgkmcnt(0)
	v_pk_mul_f32 v[122:123], v[110:111], v[2:3] op_sel:[0,1]
	s_nop 0
	v_pk_fma_f32 v[124:125], v[110:111], v[2:3], v[122:123] op_sel:[0,0,1] op_sel_hi:[1,0,0]
	v_pk_fma_f32 v[2:3], v[110:111], v[2:3], v[122:123] op_sel:[0,0,1] op_sel_hi:[1,0,0] neg_lo:[1,0,0] neg_hi:[1,0,0]
	v_mov_b32_e32 v122, v136
	v_mov_b32_e32 v123, v128
	v_pk_add_f32 v[110:111], v[120:121], v[122:123] neg_lo:[0,1] neg_hi:[0,1]
	v_mov_b32_e32 v125, v3
	v_mov_b32_e32 v2, v111
	v_pk_add_f32 v[126:127], v[110:111], v[2:3]
	v_pk_add_f32 v[110:111], v[124:125], v[142:143]
	v_fma_f32 v7, -0.5, v134, v124
	v_pk_add_f32 v[110:111], v[110:111], v[136:137]
	v_pk_add_f32 v[136:137], v[136:137], v[128:129] neg_lo:[0,1] neg_hi:[0,1]
	v_pk_add_f32 v[128:129], v[110:111], v[128:129]
	v_pk_add_f32 v[110:111], v[80:81], v[130:131] neg_lo:[0,1] neg_hi:[0,1]
	v_fma_f32 v9, -0.5, v135, v3
	v_mov_b32_e32 v2, v111
	v_pk_add_f32 v[118:119], v[110:111], v[2:3]
	v_pk_add_f32 v[110:111], v[116:117], v[140:141] neg_lo:[0,1] neg_hi:[0,1]
	v_mov_b32_e32 v127, v137
	v_pk_add_f32 v[138:139], v[110:111], v[112:113]
	ds_read2_b64 v[110:113], v90 offset1:90
	v_pk_add_f32 v[134:135], v[142:143], v[82:83] neg_lo:[0,1] neg_hi:[0,1]
	v_pk_mul_f32 v[126:127], v[126:127], s[10:11]
	v_fmamk_f32 v2, v135, 0xbf737871, v7
	v_mov_b32_e32 v119, v136
	s_waitcnt lgkmcnt(0)
	v_pk_fma_f32 v[144:145], v[144:145], 0.5, v[110:111] op_sel_hi:[1,0,1] neg_lo:[1,0,0] neg_hi:[1,0,0]
	v_pk_mul_f32 v[148:149], v[146:147], s[12:13] op_sel_hi:[1,0]
	v_sub_f32_e32 v4, v2, v127
	v_pk_mul_f32 v[118:119], v[118:119], s[10:11]
	v_fmamk_f32 v2, v134, 0x3f737871, v9
	v_pk_add_f32 v[150:151], v[144:145], v[148:149] op_sel:[0,1] op_sel_hi:[1,0] neg_lo:[0,1] neg_hi:[0,1]
	v_pk_add_f32 v[144:145], v[144:145], v[148:149] op_sel:[0,1] op_sel_hi:[1,0]
	v_pk_add_f32 v[148:149], v[140:141], v[132:133] neg_lo:[0,1] neg_hi:[0,1]
	v_add_f32_e32 v2, v119, v2
	v_pk_mul_f32 v[152:153], v[148:149], s[14:15] op_sel_hi:[1,0]
	v_add_f32_e32 v2, v118, v2
	v_pk_add_f32 v[144:145], v[144:145], v[152:153] op_sel:[0,1] op_sel_hi:[1,0]
	v_pk_add_f32 v[150:151], v[150:151], v[152:153] op_sel:[0,1] op_sel_hi:[1,0] neg_lo:[0,1] neg_hi:[0,1]
	v_pk_mul_f32 v[152:153], v[2:3], s[16:17] op_sel_hi:[0,1]
	v_add_f32_e32 v2, v126, v4
	v_pk_fma_f32 v[154:155], v[2:3], s[18:19], v[152:153] neg_lo:[0,0,1] neg_hi:[0,0,1]
	v_pk_fma_f32 v[152:153], v[2:3], s[18:19], v[152:153] op_sel_hi:[0,1,1]
	v_mul_u32_u24_e32 v2, 0x960, v108
	v_lshlrev_b32_sdwa v4, v106, v109 dst_sel:DWORD dst_unused:UNUSED_PAD src0_sel:DWORD src1_sel:BYTE_0
	v_pk_add_f32 v[120:121], v[122:123], v[120:121] neg_lo:[0,1] neg_hi:[0,1]
	v_add3_u32 v11, 0, v2, v4
	v_pk_add_f32 v[108:109], v[110:111], v[116:117]
	v_pk_add_f32 v[128:129], v[128:129], v[82:83]
	;; [unrolled: 1-line block ×3, first 2 shown]
	v_mov_b32_e32 v2, v121
	v_pk_add_f32 v[80:81], v[130:131], v[80:81] neg_lo:[0,1] neg_hi:[0,1]
	v_pk_add_f32 v[108:109], v[108:109], v[140:141]
	v_pk_add_f32 v[120:121], v[120:121], v[2:3]
	v_fmac_f32_e32 v3, -0.5, v83
	v_mov_b32_e32 v2, v81
	v_pk_add_f32 v[108:109], v[108:109], v[132:133]
	v_mov_b32_e32 v4, v124
	v_pk_add_f32 v[80:81], v[80:81], v[2:3]
	v_pk_add_f32 v[108:109], v[108:109], v[84:85]
	v_fmac_f32_e32 v4, -0.5, v82
	v_pk_add_f32 v[82:83], v[140:141], v[116:117] neg_lo:[0,1] neg_hi:[0,1]
	v_pk_add_f32 v[116:117], v[116:117], v[84:85]
	v_pk_add_f32 v[84:85], v[132:133], v[84:85] neg_lo:[0,1] neg_hi:[0,1]
	v_mov_b32_e32 v121, v135
	v_mov_b32_e32 v81, v134
	v_fmamk_f32 v2, v137, 0x3f737871, v4
	v_fmamk_f32 v12, v136, 0xbf737871, v3
	v_pk_add_f32 v[82:83], v[82:83], v[84:85]
	v_pk_mul_f32 v[84:85], v[120:121], s[10:11]
	v_pk_mul_f32 v[80:81], v[80:81], s[10:11]
	v_sub_f32_e32 v15, v2, v85
	v_add_f32_e32 v2, v81, v12
	v_fmac_f32_e32 v3, 0x3f737871, v136
	v_add_f32_e32 v2, v80, v2
	v_pk_mul_f32 v[120:121], v[2:3], s[12:13] op_sel_hi:[0,1]
	v_add_f32_e32 v2, v84, v15
	v_fmac_f32_e32 v4, 0xbf737871, v137
	v_pk_fma_f32 v[122:123], v[2:3], s[20:21], v[120:121] neg_lo:[0,0,1] neg_hi:[0,0,1]
	v_pk_fma_f32 v[120:121], v[2:3], s[20:21], v[120:121] op_sel_hi:[0,1,1]
	v_pk_fma_f32 v[110:111], v[116:117], 0.5, v[110:111] op_sel_hi:[1,0,1] neg_lo:[1,0,0] neg_hi:[1,0,0]
	v_pk_mul_f32 v[116:117], v[148:149], s[12:13] op_sel_hi:[1,0]
	v_sub_f32_e32 v3, v3, v81
	v_mov_b32_e32 v123, v121
	v_pk_add_f32 v[120:121], v[110:111], v[116:117] op_sel:[0,1] op_sel_hi:[1,0]
	v_pk_add_f32 v[110:111], v[110:111], v[116:117] op_sel:[0,1] op_sel_hi:[1,0] neg_lo:[0,1] neg_hi:[0,1]
	v_pk_mul_f32 v[116:117], v[146:147], s[14:15] op_sel_hi:[1,0]
	v_add_f32_e32 v2, v85, v4
	v_add_f32_e32 v4, v80, v3
	v_pk_add_f32 v[110:111], v[110:111], v[116:117] op_sel:[0,1] op_sel_hi:[1,0]
	v_pk_add_f32 v[116:117], v[120:121], v[116:117] op_sel:[0,1] op_sel_hi:[1,0] neg_lo:[0,1] neg_hi:[0,1]
	v_add_f32_e32 v2, v84, v2
	v_pk_mul_f32 v[80:81], v[4:5], s[12:13] op_sel_hi:[0,1]
	v_pk_fma_f32 v[2:3], v[2:3], s[22:23], v[80:81] op_sel_hi:[0,1,1] neg_lo:[0,0,1] neg_hi:[0,0,1]
	v_mov_b32_e32 v80, v116
	v_mov_b32_e32 v81, v111
	;; [unrolled: 1-line block ×3, first 2 shown]
	v_fmac_f32_e32 v7, 0x3f737871, v135
	v_fmac_f32_e32 v9, 0xbf737871, v134
	v_pk_fma_f32 v[80:81], v[82:83], s[10:11], v[80:81] op_sel_hi:[1,0,1]
	v_pk_fma_f32 v[82:83], v[82:83], s[10:11], v[110:111] op_sel_hi:[1,0,1]
	v_add_f32_e32 v4, v127, v7
	v_sub_f32_e32 v7, v9, v119
	v_pk_add_f32 v[84:85], v[80:81], v[122:123]
	v_pk_add_f32 v[110:111], v[82:83], v[2:3]
	v_add_f32_e32 v12, v118, v7
	v_mov_b32_e32 v155, v153
	s_barrier
	v_mov_b32_e32 v153, v145
	ds_write2_b64 v11, v[84:85], v[110:111] offset0:60 offset1:90
	v_add_f32_e32 v4, v126, v4
	v_pk_mul_f32 v[84:85], v[12:13], s[16:17] op_sel_hi:[0,1]
	v_mov_b32_e32 v145, v151
	v_mov_b32_e32 v152, v150
	v_pk_fma_f32 v[84:85], v[4:5], s[24:25], v[84:85] op_sel_hi:[0,1,1] neg_lo:[0,0,1] neg_hi:[0,0,1]
	v_pk_fma_f32 v[110:111], v[138:139], s[10:11], v[144:145] op_sel_hi:[1,0,1]
	v_pk_fma_f32 v[152:153], v[138:139], s[10:11], v[152:153] op_sel_hi:[1,0,1]
	v_pk_add_f32 v[156:157], v[108:109], v[128:129]
	v_pk_add_f32 v[108:109], v[108:109], v[128:129] neg_lo:[0,1] neg_hi:[0,1]
	v_pk_add_f32 v[116:117], v[110:111], v[84:85]
	ds_write2_b64 v11, v[116:117], v[108:109] offset0:120 offset1:150
	v_pk_add_f32 v[108:109], v[152:153], v[154:155] neg_lo:[0,1] neg_hi:[0,1]
	v_pk_add_f32 v[80:81], v[80:81], v[122:123] neg_lo:[0,1] neg_hi:[0,1]
	ds_write2_b64 v11, v[108:109], v[80:81] offset0:180 offset1:210
	v_pk_add_f32 v[2:3], v[82:83], v[2:3] neg_lo:[0,1] neg_hi:[0,1]
	v_pk_add_f32 v[80:81], v[110:111], v[84:85] neg_lo:[0,1] neg_hi:[0,1]
	v_add_u32_e32 v4, 0x400, v11
	ds_write2_b64 v4, v[2:3], v[80:81] offset0:112 offset1:142
	v_mov_b32_e32 v2, v60
	v_mov_b32_e32 v3, v44
	v_pk_add_f32 v[74:75], v[2:3], v[68:69] neg_lo:[0,1] neg_hi:[0,1]
	v_pk_add_f32 v[80:81], v[72:73], v[62:63]
	v_mov_b32_e32 v4, v75
	v_pk_add_f32 v[74:75], v[74:75], v[4:5]
	v_pk_add_f32 v[72:73], v[72:73], v[62:63] neg_lo:[0,1] neg_hi:[0,1]
	v_mov_b32_e32 v4, v71
	v_pk_add_f32 v[62:63], v[78:79], v[62:63]
	v_pk_add_f32 v[70:71], v[70:71], v[4:5]
	v_pk_add_f32 v[78:79], v[48:49], v[54:55] neg_lo:[0,1] neg_hi:[0,1]
	v_fma_f32 v7, -0.5, v80, v66
	v_fma_f32 v9, -0.5, v81, v59
	v_mov_b32_e32 v75, v73
	v_pk_add_f32 v[80:81], v[60:61], v[44:45] neg_lo:[0,1] neg_hi:[0,1]
	v_pk_add_f32 v[158:159], v[152:153], v[154:155]
	v_pk_add_f32 v[76:77], v[76:77], v[78:79]
	;; [unrolled: 1-line block ×3, first 2 shown]
	v_pk_add_f32 v[82:83], v[64:65], v[48:49] neg_lo:[0,1] neg_hi:[0,1]
	v_pk_mul_f32 v[74:75], v[74:75], s[10:11]
	v_fmamk_f32 v4, v81, 0xbf737871, v7
	v_mov_b32_e32 v71, v72
	ds_write2_b64 v11, v[156:157], v[158:159] offset1:30
	v_pk_fma_f32 v[78:79], v[78:79], 0.5, v[112:113] op_sel_hi:[1,0,1] neg_lo:[1,0,0] neg_hi:[1,0,0]
	v_pk_mul_f32 v[84:85], v[82:83], s[12:13] op_sel_hi:[1,0]
	v_sub_f32_e32 v11, v4, v75
	v_pk_mul_f32 v[70:71], v[70:71], s[10:11]
	v_fmamk_f32 v4, v80, 0x3f737871, v9
	v_pk_add_f32 v[108:109], v[78:79], v[84:85] op_sel:[0,1] op_sel_hi:[1,0] neg_lo:[0,1] neg_hi:[0,1]
	v_pk_add_f32 v[78:79], v[78:79], v[84:85] op_sel:[0,1] op_sel_hi:[1,0]
	v_pk_add_f32 v[84:85], v[56:57], v[54:55] neg_lo:[0,1] neg_hi:[0,1]
	v_add_f32_e32 v4, v71, v4
	v_pk_mul_f32 v[110:111], v[84:85], s[14:15] op_sel_hi:[1,0]
	v_add_f32_e32 v4, v70, v4
	v_pk_add_f32 v[78:79], v[78:79], v[110:111] op_sel:[0,1] op_sel_hi:[1,0]
	v_pk_add_f32 v[108:109], v[108:109], v[110:111] op_sel:[0,1] op_sel_hi:[1,0] neg_lo:[0,1] neg_hi:[0,1]
	v_pk_mul_f32 v[110:111], v[4:5], s[16:17] op_sel_hi:[0,1]
	v_add_f32_e32 v4, v74, v11
	v_pk_fma_f32 v[114:115], v[4:5], s[18:19], v[110:111] neg_lo:[0,0,1] neg_hi:[0,0,1]
	v_pk_fma_f32 v[110:111], v[4:5], s[18:19], v[110:111] op_sel_hi:[0,1,1]
	v_lshlrev_b32_sdwa v4, v106, v89 dst_sel:DWORD dst_unused:UNUSED_PAD src0_sel:DWORD src1_sel:BYTE_0
	v_mul_u32_u24_e32 v11, 0x960, v88
	v_pk_add_f32 v[2:3], v[68:69], v[2:3] neg_lo:[0,1] neg_hi:[0,1]
	v_add3_u32 v25, 0, v11, v4
	v_mov_b32_e32 v4, v3
	v_pk_add_f32 v[88:89], v[112:113], v[64:65]
	v_pk_add_f32 v[2:3], v[2:3], v[4:5]
	v_mov_b32_e32 v4, v43
	v_pk_add_f32 v[88:89], v[88:89], v[56:57]
	v_pk_add_f32 v[62:63], v[62:63], v[44:45]
	;; [unrolled: 1-line block ×3, first 2 shown]
	v_mov_b32_e32 v11, v66
	v_pk_add_f32 v[42:43], v[42:43], v[4:5]
	v_pk_add_f32 v[88:89], v[88:89], v[54:55]
	v_mov_b32_e32 v106, v108
	v_mov_b32_e32 v107, v79
	v_fmac_f32_e32 v11, -0.5, v44
	v_fmac_f32_e32 v59, -0.5, v45
	v_mov_b32_e32 v3, v81
	v_mov_b32_e32 v43, v80
	v_mov_b32_e32 v115, v111
	v_pk_add_f32 v[88:89], v[88:89], v[48:49]
	v_pk_fma_f32 v[106:107], v[76:77], s[10:11], v[106:107] op_sel_hi:[1,0,1]
	v_fmamk_f32 v4, v73, 0x3f737871, v11
	v_fmamk_f32 v12, v72, 0xbf737871, v59
	v_pk_mul_f32 v[2:3], v[2:3], s[10:11]
	v_pk_mul_f32 v[42:43], v[42:43], s[10:11]
	v_pk_add_f32 v[110:111], v[88:89], v[62:63]
	v_pk_add_f32 v[116:117], v[106:107], v[114:115]
	v_sub_f32_e32 v15, v4, v3
	v_add_f32_e32 v4, v43, v12
	ds_write2_b64 v25, v[110:111], v[116:117] offset1:30
	v_pk_add_f32 v[110:111], v[64:65], v[48:49]
	v_pk_add_f32 v[44:45], v[56:57], v[64:65] neg_lo:[0,1] neg_hi:[0,1]
	v_pk_add_f32 v[48:49], v[54:55], v[48:49] neg_lo:[0,1] neg_hi:[0,1]
	v_add_f32_e32 v4, v42, v4
	v_fmac_f32_e32 v11, 0xbf737871, v73
	v_pk_add_f32 v[44:45], v[44:45], v[48:49]
	v_pk_mul_f32 v[48:49], v[4:5], s[12:13] op_sel_hi:[0,1]
	v_add_f32_e32 v4, v2, v15
	v_fmac_f32_e32 v59, 0x3f737871, v72
	v_pk_fma_f32 v[50:51], v[4:5], s[20:21], v[48:49] neg_lo:[0,0,1] neg_hi:[0,0,1]
	v_pk_fma_f32 v[48:49], v[4:5], s[20:21], v[48:49] op_sel_hi:[0,1,1]
	v_add_f32_e32 v3, v3, v11
	v_pk_fma_f32 v[110:111], v[110:111], 0.5, v[112:113] op_sel_hi:[1,0,1] neg_lo:[1,0,0] neg_hi:[1,0,0]
	v_mov_b32_e32 v51, v49
	v_pk_mul_f32 v[48:49], v[84:85], s[12:13] op_sel_hi:[1,0]
	v_add_f32_e32 v2, v2, v3
	v_sub_f32_e32 v3, v59, v43
	v_pk_add_f32 v[54:55], v[110:111], v[48:49] op_sel:[0,1] op_sel_hi:[1,0]
	v_pk_add_f32 v[48:49], v[110:111], v[48:49] op_sel:[0,1] op_sel_hi:[1,0] neg_lo:[0,1] neg_hi:[0,1]
	v_pk_mul_f32 v[56:57], v[82:83], s[14:15] op_sel_hi:[1,0]
	v_add_f32_e32 v4, v42, v3
	v_pk_add_f32 v[48:49], v[48:49], v[56:57] op_sel:[0,1] op_sel_hi:[1,0]
	v_pk_add_f32 v[54:55], v[54:55], v[56:57] op_sel:[0,1] op_sel_hi:[1,0] neg_lo:[0,1] neg_hi:[0,1]
	v_pk_mul_f32 v[42:43], v[4:5], s[12:13] op_sel_hi:[0,1]
	v_pk_fma_f32 v[2:3], v[2:3], s[22:23], v[42:43] op_sel_hi:[0,1,1] neg_lo:[0,0,1] neg_hi:[0,0,1]
	v_mov_b32_e32 v42, v54
	v_mov_b32_e32 v43, v49
	;; [unrolled: 1-line block ×3, first 2 shown]
	v_fmac_f32_e32 v7, 0x3f737871, v81
	v_fmac_f32_e32 v9, 0xbf737871, v80
	v_pk_fma_f32 v[42:43], v[44:45], s[10:11], v[42:43] op_sel_hi:[1,0,1]
	v_pk_fma_f32 v[44:45], v[44:45], s[10:11], v[48:49] op_sel_hi:[1,0,1]
	v_add_f32_e32 v4, v75, v7
	v_sub_f32_e32 v7, v9, v71
	v_pk_add_f32 v[48:49], v[42:43], v[50:51]
	v_pk_add_f32 v[54:55], v[44:45], v[2:3]
	v_add_f32_e32 v12, v70, v7
	ds_write2_b64 v25, v[48:49], v[54:55] offset0:60 offset1:90
	v_add_f32_e32 v4, v74, v4
	v_pk_mul_f32 v[48:49], v[12:13], s[16:17] op_sel_hi:[0,1]
	v_mov_b32_e32 v79, v109
	v_pk_fma_f32 v[48:49], v[4:5], s[24:25], v[48:49] op_sel_hi:[0,1,1] neg_lo:[0,0,1] neg_hi:[0,0,1]
	v_pk_fma_f32 v[54:55], v[76:77], s[10:11], v[78:79] op_sel_hi:[1,0,1]
	v_mov_b32_e32 v9, v33
	v_pk_add_f32 v[2:3], v[44:45], v[2:3] neg_lo:[0,1] neg_hi:[0,1]
	v_pk_add_f32 v[32:33], v[54:55], v[48:49] neg_lo:[0,1] neg_hi:[0,1]
	v_add_u32_e32 v4, 0x400, v25
	v_mov_b32_e32 v11, v39
	v_mov_b32_e32 v39, v6
	ds_write2_b64 v4, v[2:3], v[32:33] offset0:112 offset1:142
	v_mov_b32_e32 v2, v36
	v_mov_b32_e32 v3, v28
	v_pk_add_f32 v[56:57], v[88:89], v[62:63] neg_lo:[0,1] neg_hi:[0,1]
	v_pk_add_f32 v[58:59], v[54:55], v[48:49]
	v_pk_add_f32 v[32:33], v[38:39], v[2:3] neg_lo:[0,1] neg_hi:[0,1]
	ds_write2_b64 v25, v[58:59], v[56:57] offset0:120 offset1:150
	v_pk_add_f32 v[56:57], v[106:107], v[114:115] neg_lo:[0,1] neg_hi:[0,1]
	v_pk_add_f32 v[42:43], v[42:43], v[50:51] neg_lo:[0,1] neg_hi:[0,1]
	v_mov_b32_e32 v4, v33
	ds_write2_b64 v25, v[56:57], v[42:43] offset0:180 offset1:210
	v_pk_add_f32 v[32:33], v[32:33], v[4:5]
	v_mov_b32_e32 v25, v41
	v_mov_b32_e32 v4, v41
	;; [unrolled: 1-line block ×3, first 2 shown]
	v_pk_add_f32 v[42:43], v[30:31], v[24:25]
	v_pk_add_f32 v[34:35], v[4:5], v[12:13] neg_lo:[0,1] neg_hi:[0,1]
	v_mov_b32_e32 v15, v47
	v_pk_add_f32 v[42:43], v[42:43], v[36:37]
	v_pk_add_f32 v[44:45], v[36:37], v[28:29]
	v_pk_add_f32 v[36:37], v[36:37], v[28:29] neg_lo:[0,1] neg_hi:[0,1]
	v_mov_b32_e32 v26, v35
	v_mov_b32_e32 v7, v5
	v_pk_add_f32 v[28:29], v[42:43], v[28:29]
	v_pk_add_f32 v[34:35], v[34:35], v[26:27]
	v_pk_add_f32 v[40:41], v[22:23], v[14:15] neg_lo:[0,1] neg_hi:[0,1]
	v_pk_add_f32 v[42:43], v[8:9], v[10:11] neg_lo:[0,1] neg_hi:[0,1]
	v_fma_f32 v31, -0.5, v44, v30
	v_fma_f32 v62, -0.5, v45, v27
	v_mov_b32_e32 v33, v37
	v_pk_add_f32 v[44:45], v[24:25], v[6:7] neg_lo:[0,1] neg_hi:[0,1]
	v_pk_add_f32 v[40:41], v[40:41], v[42:43]
	v_pk_add_f32 v[42:43], v[14:15], v[10:11]
	v_pk_add_f32 v[46:47], v[22:23], v[8:9] neg_lo:[0,1] neg_hi:[0,1]
	v_pk_mul_f32 v[32:33], v[32:33], s[10:11]
	v_fmamk_f32 v26, v45, 0xbf737871, v31
	v_mov_b32_e32 v35, v36
	v_pk_fma_f32 v[42:43], v[42:43], 0.5, v[0:1] op_sel_hi:[1,0,1] neg_lo:[1,0,0] neg_hi:[1,0,0]
	v_pk_mul_f32 v[48:49], v[46:47], s[12:13] op_sel_hi:[1,0]
	v_sub_f32_e32 v54, v26, v33
	v_pk_mul_f32 v[34:35], v[34:35], s[10:11]
	v_fmamk_f32 v26, v44, 0x3f737871, v62
	v_pk_add_f32 v[50:51], v[42:43], v[48:49] op_sel:[0,1] op_sel_hi:[1,0] neg_lo:[0,1] neg_hi:[0,1]
	v_pk_add_f32 v[42:43], v[42:43], v[48:49] op_sel:[0,1] op_sel_hi:[1,0]
	v_pk_add_f32 v[48:49], v[14:15], v[10:11] neg_lo:[0,1] neg_hi:[0,1]
	v_add_f32_e32 v26, v35, v26
	v_pk_mul_f32 v[52:53], v[48:49], s[14:15] op_sel_hi:[1,0]
	v_add_f32_e32 v26, v34, v26
	v_pk_add_f32 v[2:3], v[2:3], v[38:39] neg_lo:[0,1] neg_hi:[0,1]
	v_pk_add_f32 v[42:43], v[42:43], v[52:53] op_sel:[0,1] op_sel_hi:[1,0]
	v_pk_add_f32 v[50:51], v[50:51], v[52:53] op_sel:[0,1] op_sel_hi:[1,0] neg_lo:[0,1] neg_hi:[0,1]
	v_pk_mul_f32 v[52:53], v[26:27], s[16:17] op_sel_hi:[0,1]
	v_add_f32_e32 v26, v32, v54
	v_pk_add_f32 v[28:29], v[28:29], v[6:7]
	v_pk_add_f32 v[6:7], v[24:25], v[6:7]
	v_mov_b32_e32 v24, v3
	v_pk_fma_f32 v[54:55], v[26:27], s[18:19], v[52:53] neg_lo:[0,0,1] neg_hi:[0,0,1]
	v_pk_fma_f32 v[52:53], v[26:27], s[18:19], v[52:53] op_sel_hi:[0,1,1]
	v_pk_add_f32 v[2:3], v[2:3], v[24:25]
	v_mov_b32_e32 v24, v30
	v_pk_add_f32 v[4:5], v[12:13], v[4:5] neg_lo:[0,1] neg_hi:[0,1]
	v_mul_u32_u24_e32 v26, 0x960, v86
	v_lshlrev_b32_e32 v52, 3, v87
	v_fmac_f32_e32 v24, -0.5, v6
	v_mov_b32_e32 v6, v5
	v_mov_b32_e32 v3, v45
	;; [unrolled: 1-line block ×3, first 2 shown]
	v_add3_u32 v63, 0, v26, v52
	v_pk_add_f32 v[52:53], v[0:1], v[22:23]
	v_fmac_f32_e32 v27, -0.5, v7
	v_pk_add_f32 v[4:5], v[4:5], v[6:7]
	v_fmamk_f32 v7, v37, 0x3f737871, v24
	v_fmac_f32_e32 v24, 0xbf737871, v37
	v_pk_mul_f32 v[2:3], v[2:3], s[10:11]
	v_pk_add_f32 v[52:53], v[52:53], v[14:15]
	v_fmac_f32_e32 v62, 0xbf737871, v44
	v_mov_b32_e32 v5, v44
	v_sub_f32_e32 v7, v7, v3
	v_add_f32_e32 v3, v3, v24
	v_pk_add_f32 v[52:53], v[52:53], v[10:11]
	v_mov_b32_e32 v56, v50
	v_mov_b32_e32 v57, v43
	v_fmamk_f32 v13, v36, 0xbf737871, v27
	v_fmac_f32_e32 v27, 0x3f737871, v36
	v_add_f32_e32 v12, v2, v7
	v_add_f32_e32 v2, v2, v3
	v_sub_f32_e32 v3, v62, v35
	v_pk_mul_f32 v[4:5], v[4:5], s[10:11]
	v_pk_add_f32 v[52:53], v[52:53], v[8:9]
	v_pk_fma_f32 v[56:57], v[40:41], s[10:11], v[56:57] op_sel_hi:[1,0,1]
	v_add_f32_e32 v24, v34, v3
	v_sub_f32_e32 v3, v27, v5
	v_add_f32_e32 v5, v5, v13
	v_pk_add_f32 v[58:59], v[52:53], v[28:29]
	v_pk_add_f32 v[60:61], v[56:57], v[54:55]
	v_add_f32_e32 v26, v4, v5
	ds_write2_b64 v63, v[58:59], v[60:61] offset1:30
	v_pk_add_f32 v[58:59], v[22:23], v[8:9]
	v_pk_add_f32 v[14:15], v[14:15], v[22:23] neg_lo:[0,1] neg_hi:[0,1]
	v_pk_add_f32 v[8:9], v[10:11], v[8:9] neg_lo:[0,1] neg_hi:[0,1]
	v_pk_mul_f32 v[10:11], v[26:27], s[12:13] op_sel_hi:[0,1]
	v_pk_add_f32 v[8:9], v[14:15], v[8:9]
	v_pk_fma_f32 v[14:15], v[12:13], s[20:21], v[10:11] neg_lo:[0,0,1] neg_hi:[0,0,1]
	v_pk_fma_f32 v[10:11], v[12:13], s[20:21], v[10:11] op_sel_hi:[0,1,1]
	v_pk_fma_f32 v[0:1], v[58:59], 0.5, v[0:1] op_sel_hi:[1,0,1] neg_lo:[1,0,0] neg_hi:[1,0,0]
	v_mov_b32_e32 v15, v11
	v_pk_mul_f32 v[10:11], v[48:49], s[12:13] op_sel_hi:[1,0]
	v_pk_mul_f32 v[12:13], v[46:47], s[14:15] op_sel_hi:[1,0]
	v_pk_add_f32 v[22:23], v[0:1], v[10:11] op_sel:[0,1] op_sel_hi:[1,0]
	v_pk_add_f32 v[0:1], v[0:1], v[10:11] op_sel:[0,1] op_sel_hi:[1,0] neg_lo:[0,1] neg_hi:[0,1]
	v_add_f32_e32 v4, v4, v3
	v_pk_add_f32 v[0:1], v[0:1], v[12:13] op_sel:[0,1] op_sel_hi:[1,0]
	v_pk_add_f32 v[10:11], v[22:23], v[12:13] op_sel:[0,1] op_sel_hi:[1,0] neg_lo:[0,1] neg_hi:[0,1]
	v_mov_b32_e32 v13, v1
	v_mov_b32_e32 v12, v10
	v_pk_mul_f32 v[4:5], v[4:5], s[12:13] op_sel_hi:[0,1]
	v_mov_b32_e32 v1, v11
	v_fmac_f32_e32 v31, 0x3f737871, v45
	v_pk_fma_f32 v[12:13], v[8:9], s[10:11], v[12:13] op_sel_hi:[1,0,1]
	v_pk_fma_f32 v[2:3], v[2:3], s[22:23], v[4:5] op_sel_hi:[0,1,1] neg_lo:[0,0,1] neg_hi:[0,0,1]
	v_pk_fma_f32 v[0:1], v[8:9], s[10:11], v[0:1] op_sel_hi:[1,0,1]
	v_add_f32_e32 v6, v33, v31
	v_pk_add_f32 v[22:23], v[12:13], v[14:15]
	v_pk_add_f32 v[4:5], v[0:1], v[2:3]
	v_add_f32_e32 v6, v32, v6
	ds_write2_b64 v63, v[22:23], v[4:5] offset0:60 offset1:90
	v_pk_mul_f32 v[4:5], v[24:25], s[16:17] op_sel_hi:[0,1]
	v_mov_b32_e32 v43, v51
	v_pk_fma_f32 v[4:5], v[6:7], s[24:25], v[4:5] op_sel_hi:[0,1,1] neg_lo:[0,0,1] neg_hi:[0,0,1]
	v_pk_fma_f32 v[6:7], v[40:41], s[10:11], v[42:43] op_sel_hi:[1,0,1]
	v_pk_add_f32 v[10:11], v[52:53], v[28:29] neg_lo:[0,1] neg_hi:[0,1]
	v_pk_add_f32 v[8:9], v[6:7], v[4:5]
	v_lshlrev_b32_e32 v22, 1, v18
	v_mov_b32_e32 v23, 0
	ds_write2_b64 v63, v[8:9], v[10:11] offset0:120 offset1:150
	v_pk_add_f32 v[8:9], v[56:57], v[54:55] neg_lo:[0,1] neg_hi:[0,1]
	v_pk_add_f32 v[10:11], v[12:13], v[14:15] neg_lo:[0,1] neg_hi:[0,1]
	;; [unrolled: 1-line block ×4, first 2 shown]
	v_add_u32_e32 v4, 0x400, v63
	v_lshl_add_u64 v[24:25], v[22:23], 3, s[8:9]
	ds_write2_b64 v63, v[8:9], v[10:11] offset0:180 offset1:210
	ds_write2_b64 v4, v[0:1], v[2:3] offset0:112 offset1:142
	s_waitcnt lgkmcnt(0)
	s_barrier
	global_load_dwordx4 v[8:11], v[24:25], off offset:2376
	v_lshlrev_b32_e32 v0, 1, v105
	v_mov_b32_e32 v1, v23
	v_lshl_add_u64 v[26:27], v[0:1], 3, s[8:9]
	v_add_u32_e32 v30, 0x32a, v18
	global_load_dwordx4 v[4:7], v[26:27], off offset:2376
	v_lshrrev_b16_e32 v28, 2, v30
	v_add_u32_e32 v0, 0x12c, v22
	v_mul_u32_u24_e32 v28, 0x6d3b, v28
	v_lshl_add_u64 v[0:1], v[0:1], 3, s[8:9]
	v_lshrrev_b32_e32 v28, 21, v28
	global_load_dwordx4 v[0:3], v[0:1], off offset:2376
	v_mul_lo_u16_e32 v28, 0x12c, v28
	v_add_u32_e32 v12, 0x78, v22
	v_mov_b32_e32 v13, v23
	v_sub_u16_e32 v128, v30, v28
	v_lshl_add_u64 v[12:13], v[12:13], 3, s[8:9]
	v_lshlrev_b32_e32 v28, 4, v128
	global_load_dwordx4 v[34:37], v28, s[8:9] offset:2376
	v_add_u32_e32 v31, 0x2d0, v18
	global_load_dwordx4 v[12:15], v[12:13], off offset:2376
	v_lshrrev_b16_e32 v28, 2, v31
	v_mul_u32_u24_e32 v28, 0x6d3b, v28
	v_lshrrev_b32_e32 v28, 21, v28
	v_mul_lo_u16_e32 v28, 0x12c, v28
	v_sub_u16_e32 v129, v31, v28
	v_lshlrev_b32_e32 v28, 4, v129
	global_load_dwordx4 v[38:41], v28, s[8:9] offset:2376
	v_add_u32_e32 v32, 0x276, v18
	v_lshrrev_b16_e32 v28, 2, v32
	v_mul_u32_u24_e32 v28, 0x6d3b, v28
	v_lshrrev_b32_e32 v28, 21, v28
	v_mul_lo_u16_e32 v28, 0x12c, v28
	v_sub_u16_e32 v130, v32, v28
	v_lshlrev_b32_e32 v28, 4, v130
	v_add_u32_e32 v33, 0x21c, v18
	global_load_dwordx4 v[42:45], v28, s[8:9] offset:2376
	v_lshrrev_b16_e32 v28, 2, v33
	v_mul_u32_u24_e32 v28, 0x6d3b, v28
	v_lshrrev_b32_e32 v131, 21, v28
	v_mul_lo_u16_e32 v28, 0x12c, v131
	v_sub_u16_e32 v132, v33, v28
	v_lshlrev_b32_e32 v28, 4, v132
	global_load_dwordx4 v[46:49], v28, s[8:9] offset:2376
	v_lshlrev_b32_e32 v28, 1, v104
	v_mov_b32_e32 v29, v23
	v_lshl_add_u64 v[28:29], v[28:29], 3, s[8:9]
	v_add_u32_e32 v133, 0x10e, v18
	v_subrev_u32_e32 v54, 30, v18
	global_load_dwordx4 v[50:53], v[28:29], off offset:2376
	v_cndmask_b32_e32 v134, v54, v133, vcc
	v_lshlrev_b32_e32 v54, 1, v134
	v_mov_b32_e32 v55, v23
	v_lshl_add_u64 v[54:55], v[54:55], 3, s[8:9]
	global_load_dwordx4 v[54:57], v[54:55], off offset:2376
	ds_read2_b64 v[58:61], v102 offset0:132 offset1:222
	ds_read2_b64 v[62:65], v101 offset0:8 offset1:98
	;; [unrolled: 1-line block ×4, first 2 shown]
	v_cmp_lt_u32_e32 vcc, 29, v18
	s_waitcnt vmcnt(9) lgkmcnt(3)
	v_pk_mul_f32 v[74:75], v[8:9], v[58:59] op_sel:[0,1]
	s_nop 0
	v_pk_fma_f32 v[76:77], v[8:9], v[58:59], v[74:75] op_sel:[0,0,1] op_sel_hi:[1,1,0]
	v_pk_fma_f32 v[8:9], v[8:9], v[58:59], v[74:75] op_sel:[0,0,1] op_sel_hi:[1,0,0] neg_lo:[1,0,0] neg_hi:[1,0,0]
	s_waitcnt lgkmcnt(2)
	v_pk_mul_f32 v[58:59], v[10:11], v[62:63] op_sel:[0,1]
	v_mov_b32_e32 v77, v9
	v_pk_fma_f32 v[74:75], v[10:11], v[62:63], v[58:59] op_sel:[0,0,1] op_sel_hi:[1,1,0]
	v_pk_fma_f32 v[10:11], v[10:11], v[62:63], v[58:59] op_sel:[0,0,1] op_sel_hi:[1,0,0] neg_lo:[1,0,0] neg_hi:[1,0,0]
	s_waitcnt vmcnt(8)
	v_pk_mul_f32 v[58:59], v[60:61], v[4:5] op_sel:[0,1]
	v_mov_b32_e32 v75, v11
	v_pk_fma_f32 v[62:63], v[60:61], v[4:5], v[58:59] op_sel:[0,0,1] op_sel_hi:[1,1,0]
	v_pk_fma_f32 v[58:59], v[60:61], v[4:5], v[58:59] op_sel:[0,0,1] op_sel_hi:[1,0,0] neg_lo:[0,0,1] neg_hi:[0,0,1]
	v_mov_b32_e32 v4, v7
	v_pk_mul_f32 v[4:5], v[64:65], v[4:5] op_sel_hi:[1,0]
	v_mov_b32_e32 v63, v59
	v_pk_fma_f32 v[60:61], v[64:65], v[6:7], v[4:5] op_sel:[0,0,1] op_sel_hi:[1,1,0]
	v_pk_fma_f32 v[64:65], v[64:65], v[6:7], v[4:5] op_sel:[0,0,1] op_sel_hi:[1,0,0] neg_lo:[0,0,1] neg_hi:[0,0,1]
	s_waitcnt vmcnt(7) lgkmcnt(1)
	v_pk_mul_f32 v[4:5], v[68:69], v[0:1] op_sel:[0,1]
	v_mov_b32_e32 v61, v65
	v_pk_fma_f32 v[78:79], v[68:69], v[0:1], v[4:5] op_sel:[0,0,1] op_sel_hi:[1,1,0]
	v_pk_fma_f32 v[68:69], v[68:69], v[0:1], v[4:5] op_sel:[0,0,1] op_sel_hi:[1,0,0] neg_lo:[0,0,1] neg_hi:[0,0,1]
	v_mov_b32_e32 v0, v3
	s_waitcnt lgkmcnt(0)
	v_pk_mul_f32 v[0:1], v[72:73], v[0:1] op_sel_hi:[1,0]
	s_waitcnt vmcnt(5)
	v_mov_b32_e32 v4, v15
	v_pk_fma_f32 v[80:81], v[72:73], v[2:3], v[0:1] op_sel:[0,0,1] op_sel_hi:[1,1,0]
	v_pk_fma_f32 v[72:73], v[72:73], v[2:3], v[0:1] op_sel:[0,0,1] op_sel_hi:[1,0,0] neg_lo:[0,0,1] neg_hi:[0,0,1]
	v_pk_mul_f32 v[0:1], v[66:67], v[12:13] op_sel:[0,1]
	v_pk_mul_f32 v[4:5], v[70:71], v[4:5] op_sel_hi:[1,0]
	v_pk_fma_f32 v[82:83], v[66:67], v[12:13], v[0:1] op_sel:[0,0,1] op_sel_hi:[1,1,0]
	v_pk_fma_f32 v[12:13], v[66:67], v[12:13], v[0:1] op_sel:[0,0,1] op_sel_hi:[1,0,0] neg_lo:[0,0,1] neg_hi:[0,0,1]
	ds_read2_b64 v[0:3], v97 offset0:84 offset1:174
	v_pk_fma_f32 v[66:67], v[70:71], v[14:15], v[4:5] op_sel:[0,0,1] op_sel_hi:[1,1,0]
	v_pk_fma_f32 v[14:15], v[70:71], v[14:15], v[4:5] op_sel:[0,0,1] op_sel_hi:[1,0,0] neg_lo:[0,0,1] neg_hi:[0,0,1]
	ds_read2_b64 v[4:7], v95 offset0:88 offset1:178
	v_mov_b32_e32 v79, v69
	s_waitcnt lgkmcnt(1)
	v_pk_mul_f32 v[70:71], v[2:3], v[34:35] op_sel:[0,1]
	v_mov_b32_e32 v81, v73
	v_pk_fma_f32 v[84:85], v[2:3], v[34:35], v[70:71] op_sel:[0,0,1] op_sel_hi:[1,1,0]
	v_pk_fma_f32 v[70:71], v[2:3], v[34:35], v[70:71] op_sel:[0,0,1] op_sel_hi:[1,0,0] neg_lo:[0,0,1] neg_hi:[0,0,1]
	v_mov_b32_e32 v2, v37
	s_waitcnt lgkmcnt(0)
	v_pk_mul_f32 v[2:3], v[6:7], v[2:3] op_sel_hi:[1,0]
	v_mov_b32_e32 v83, v13
	v_pk_fma_f32 v[86:87], v[6:7], v[36:37], v[2:3] op_sel:[0,0,1] op_sel_hi:[1,1,0]
	v_pk_fma_f32 v[88:89], v[6:7], v[36:37], v[2:3] op_sel:[0,0,1] op_sel_hi:[1,0,0] neg_lo:[0,0,1] neg_hi:[0,0,1]
	s_waitcnt vmcnt(4)
	v_pk_mul_f32 v[2:3], v[0:1], v[38:39] op_sel:[0,1]
	v_mov_b32_e32 v6, v41
	v_pk_fma_f32 v[104:105], v[0:1], v[38:39], v[2:3] op_sel:[0,0,1] op_sel_hi:[1,1,0]
	v_pk_fma_f32 v[38:39], v[0:1], v[38:39], v[2:3] op_sel:[0,0,1] op_sel_hi:[1,0,0] neg_lo:[0,0,1] neg_hi:[0,0,1]
	ds_read2_b64 v[0:3], v93 offset0:160 offset1:250
	v_pk_mul_f32 v[6:7], v[4:5], v[6:7] op_sel_hi:[1,0]
	v_mov_b32_e32 v67, v15
	v_pk_fma_f32 v[106:107], v[4:5], v[40:41], v[6:7] op_sel:[0,0,1] op_sel_hi:[1,1,0]
	v_pk_fma_f32 v[40:41], v[4:5], v[40:41], v[6:7] op_sel:[0,0,1] op_sel_hi:[1,0,0] neg_lo:[0,0,1] neg_hi:[0,0,1]
	ds_read2_b64 v[4:7], v92 offset0:36 offset1:126
	s_waitcnt vmcnt(3) lgkmcnt(1)
	v_pk_mul_f32 v[34:35], v[2:3], v[42:43] op_sel:[0,1]
	v_lshl_add_u32 v13, v130, 3, 0
	v_pk_fma_f32 v[108:109], v[2:3], v[42:43], v[34:35] op_sel:[0,0,1] op_sel_hi:[1,1,0]
	v_pk_fma_f32 v[42:43], v[2:3], v[42:43], v[34:35] op_sel:[0,0,1] op_sel_hi:[1,0,0] neg_lo:[0,0,1] neg_hi:[0,0,1]
	v_mov_b32_e32 v2, v45
	s_waitcnt lgkmcnt(0)
	v_pk_mul_f32 v[2:3], v[6:7], v[2:3] op_sel_hi:[1,0]
	v_mov_b32_e32 v109, v43
	v_pk_fma_f32 v[110:111], v[6:7], v[44:45], v[2:3] op_sel:[0,0,1] op_sel_hi:[1,1,0]
	v_pk_fma_f32 v[44:45], v[6:7], v[44:45], v[2:3] op_sel:[0,0,1] op_sel_hi:[1,0,0] neg_lo:[0,0,1] neg_hi:[0,0,1]
	s_waitcnt vmcnt(2)
	v_pk_mul_f32 v[2:3], v[0:1], v[46:47] op_sel:[0,1]
	v_mov_b32_e32 v6, v49
	v_pk_fma_f32 v[112:113], v[0:1], v[46:47], v[2:3] op_sel:[0,0,1] op_sel_hi:[1,1,0]
	v_pk_fma_f32 v[46:47], v[0:1], v[46:47], v[2:3] op_sel:[0,0,1] op_sel_hi:[1,0,0] neg_lo:[0,0,1] neg_hi:[0,0,1]
	ds_read2_b64 v[0:3], v100 offset0:56 offset1:146
	v_pk_mul_f32 v[6:7], v[4:5], v[6:7] op_sel_hi:[1,0]
	v_mov_b32_e32 v113, v47
	v_pk_fma_f32 v[114:115], v[4:5], v[48:49], v[6:7] op_sel:[0,0,1] op_sel_hi:[1,1,0]
	v_pk_fma_f32 v[48:49], v[4:5], v[48:49], v[6:7] op_sel:[0,0,1] op_sel_hi:[1,0,0] neg_lo:[0,0,1] neg_hi:[0,0,1]
	ds_read2_b64 v[4:7], v98 offset0:60 offset1:150
	s_waitcnt vmcnt(1) lgkmcnt(1)
	v_pk_mul_f32 v[34:35], v[0:1], v[50:51] op_sel:[0,1]
	v_mov_b32_e32 v115, v49
	v_pk_fma_f32 v[116:117], v[0:1], v[50:51], v[34:35] op_sel:[0,0,1] op_sel_hi:[1,1,0]
	v_pk_fma_f32 v[50:51], v[0:1], v[50:51], v[34:35] op_sel:[0,0,1] op_sel_hi:[1,0,0] neg_lo:[0,0,1] neg_hi:[0,0,1]
	v_mov_b32_e32 v0, v53
	s_waitcnt lgkmcnt(0)
	v_pk_mul_f32 v[0:1], v[4:5], v[0:1] op_sel_hi:[1,0]
	v_mov_b32_e32 v117, v51
	v_pk_fma_f32 v[118:119], v[4:5], v[52:53], v[0:1] op_sel:[0,0,1] op_sel_hi:[1,1,0]
	v_pk_fma_f32 v[52:53], v[4:5], v[52:53], v[0:1] op_sel:[0,0,1] op_sel_hi:[1,0,0] neg_lo:[0,0,1] neg_hi:[0,0,1]
	s_waitcnt vmcnt(0)
	v_pk_mul_f32 v[0:1], v[2:3], v[54:55] op_sel:[0,1]
	v_pk_add_f32 v[4:5], v[76:77], v[74:75]
	v_pk_fma_f32 v[120:121], v[2:3], v[54:55], v[0:1] op_sel:[0,0,1] op_sel_hi:[1,1,0]
	v_pk_fma_f32 v[54:55], v[2:3], v[54:55], v[0:1] op_sel:[0,0,1] op_sel_hi:[1,0,0] neg_lo:[0,0,1] neg_hi:[0,0,1]
	v_mov_b32_e32 v0, v57
	v_pk_mul_f32 v[0:1], v[6:7], v[0:1] op_sel_hi:[1,0]
	v_mov_b32_e32 v119, v53
	v_pk_fma_f32 v[122:123], v[6:7], v[56:57], v[0:1] op_sel:[0,0,1] op_sel_hi:[1,1,0]
	v_pk_fma_f32 v[56:57], v[6:7], v[56:57], v[0:1] op_sel:[0,0,1] op_sel_hi:[1,0,0] neg_lo:[0,0,1] neg_hi:[0,0,1]
	ds_read2_b64 v[0:3], v90 offset1:90
	v_pk_add_f32 v[52:53], v[116:117], v[118:119] neg_lo:[0,1] neg_hi:[0,1]
	v_mov_b32_e32 v121, v55
	v_mov_b32_e32 v123, v57
	;; [unrolled: 1-line block ×3, first 2 shown]
	s_waitcnt lgkmcnt(0)
	v_pk_fma_f32 v[58:59], v[4:5], 0.5, v[0:1] op_sel_hi:[1,0,1] neg_lo:[1,0,0] neg_hi:[1,0,0]
	v_pk_add_f32 v[4:5], v[62:63], v[60:61]
	v_pk_add_f32 v[0:1], v[0:1], v[76:77]
	v_pk_fma_f32 v[64:65], v[4:5], 0.5, v[2:3] op_sel_hi:[1,0,1] neg_lo:[1,0,0] neg_hi:[1,0,0]
	v_pk_add_f32 v[2:3], v[2:3], v[62:63]
	v_pk_add_f32 v[124:125], v[0:1], v[74:75]
	;; [unrolled: 1-line block ×3, first 2 shown]
	ds_read2_b64 v[0:3], v96 offset0:104 offset1:194
	ds_read2_b64 v[4:7], v103 offset0:52 offset1:142
	;; [unrolled: 1-line block ×4, first 2 shown]
	v_pk_add_f32 v[74:75], v[76:77], v[74:75] neg_lo:[0,1] neg_hi:[0,1]
	v_pk_add_f32 v[60:61], v[62:63], v[60:61] neg_lo:[0,1] neg_hi:[0,1]
	v_pk_mul_f32 v[74:75], v[74:75], s[4:5] op_sel_hi:[1,0]
	v_pk_mul_f32 v[60:61], v[60:61], s[4:5] op_sel_hi:[1,0]
	v_pk_add_f32 v[76:77], v[58:59], v[74:75] op_sel:[0,1] op_sel_hi:[1,0] neg_lo:[0,1] neg_hi:[0,1]
	v_pk_add_f32 v[58:59], v[58:59], v[74:75] op_sel:[0,1] op_sel_hi:[1,0]
	s_waitcnt lgkmcnt(2)
	v_pk_add_f32 v[50:51], v[4:5], v[116:117]
	v_pk_add_f32 v[62:63], v[64:65], v[60:61] op_sel:[0,1] op_sel_hi:[1,0] neg_lo:[0,1] neg_hi:[0,1]
	v_pk_add_f32 v[60:61], v[64:65], v[60:61] op_sel:[0,1] op_sel_hi:[1,0]
	v_mov_b32_e32 v65, v59
	v_mov_b32_e32 v64, v76
	v_pk_add_f32 v[50:51], v[50:51], v[118:119]
	s_waitcnt lgkmcnt(0)
	s_barrier
	ds_write2_b64 v103, v[50:51], v[64:65] offset0:52 offset1:172
	v_pk_add_f32 v[50:51], v[116:117], v[118:119]
	v_mov_b32_e32 v75, v61
	v_pk_fma_f32 v[4:5], v[50:51], 0.5, v[4:5] op_sel_hi:[1,0,1] neg_lo:[1,0,0] neg_hi:[1,0,0]
	v_pk_mul_f32 v[50:51], v[52:53], s[4:5] op_sel_hi:[1,0]
	v_mov_b32_e32 v74, v62
	v_pk_add_f32 v[52:53], v[4:5], v[50:51] op_sel:[0,1] op_sel_hi:[1,0] neg_lo:[0,1] neg_hi:[0,1]
	v_pk_add_f32 v[4:5], v[4:5], v[50:51] op_sel:[0,1] op_sel_hi:[1,0]
	v_mov_b32_e32 v50, v52
	v_mov_b32_e32 v51, v5
	;; [unrolled: 1-line block ×3, first 2 shown]
	ds_write2_b64 v96, v[74:75], v[50:51] offset0:134 offset1:224
	v_pk_add_f32 v[50:51], v[120:121], v[122:123]
	ds_write_b64 v90, v[4:5] offset:6240
	v_mov_b32_e32 v4, 0x1c20
	v_pk_fma_f32 v[50:51], v[50:51], 0.5, v[6:7] op_sel_hi:[1,0,1] neg_lo:[1,0,0] neg_hi:[1,0,0]
	v_pk_add_f32 v[6:7], v[6:7], v[120:121]
	v_cndmask_b32_e32 v4, 0, v4, vcc
	v_lshlrev_b32_e32 v5, 3, v134
	v_mov_b32_e32 v59, v77
	v_mov_b32_e32 v61, v63
	v_add3_u32 v12, 0, v4, v5
	v_pk_add_f32 v[4:5], v[6:7], v[122:123]
	ds_write2_b64 v90, v[124:125], v[126:127] offset1:90
	ds_write2_b64 v94, v[58:59], v[60:61] offset0:88 offset1:178
	ds_write_b64 v12, v[4:5]
	v_pk_add_f32 v[4:5], v[120:121], v[122:123] neg_lo:[0,1] neg_hi:[0,1]
	v_mov_b32_e32 v105, v39
	v_pk_mul_f32 v[4:5], v[4:5], s[4:5] op_sel_hi:[1,0]
	v_mov_b32_e32 v107, v41
	v_pk_add_f32 v[6:7], v[50:51], v[4:5] op_sel:[0,1] op_sel_hi:[1,0] neg_lo:[0,1] neg_hi:[0,1]
	v_pk_add_f32 v[4:5], v[50:51], v[4:5] op_sel:[0,1] op_sel_hi:[1,0]
	v_mov_b32_e32 v50, v6
	v_mov_b32_e32 v51, v5
	v_mov_b32_e32 v5, v7
	ds_write_b64 v12, v[4:5] offset:4800
	v_pk_add_f32 v[4:5], v[78:79], v[80:81]
	v_pk_add_f32 v[6:7], v[82:83], v[66:67]
	v_pk_fma_f32 v[4:5], v[4:5], 0.5, v[2:3] op_sel_hi:[1,0,1] neg_lo:[1,0,0] neg_hi:[1,0,0]
	v_pk_fma_f32 v[6:7], v[6:7], 0.5, v[0:1] op_sel_hi:[1,0,1] neg_lo:[1,0,0] neg_hi:[1,0,0]
	v_pk_add_f32 v[0:1], v[0:1], v[82:83]
	v_pk_add_f32 v[2:3], v[2:3], v[78:79]
	ds_write_b64 v12, v[50:51] offset:2400
	v_pk_add_f32 v[0:1], v[0:1], v[66:67]
	v_pk_add_f32 v[2:3], v[2:3], v[80:81]
	v_add_u32_e32 v12, 0x1c00, v90
	ds_write2_b64 v12, v[0:1], v[2:3] offset0:64 offset1:154
	v_pk_add_f32 v[0:1], v[78:79], v[80:81] neg_lo:[0,1] neg_hi:[0,1]
	v_mov_b32_e32 v85, v71
	v_pk_mul_f32 v[0:1], v[0:1], s[4:5] op_sel_hi:[1,0]
	v_mov_b32_e32 v87, v89
	v_pk_add_f32 v[2:3], v[4:5], v[0:1] op_sel:[0,1] op_sel_hi:[1,0]
	v_pk_add_f32 v[0:1], v[4:5], v[0:1] op_sel:[0,1] op_sel_hi:[1,0] neg_lo:[0,1] neg_hi:[0,1]
	v_pk_add_f32 v[4:5], v[82:83], v[66:67] neg_lo:[0,1] neg_hi:[0,1]
	v_mov_b32_e32 v50, v0
	v_pk_mul_f32 v[4:5], v[4:5], s[4:5] op_sel_hi:[1,0]
	v_mov_b32_e32 v51, v3
	v_pk_add_f32 v[14:15], v[6:7], v[4:5] op_sel:[0,1] op_sel_hi:[1,0] neg_lo:[0,1] neg_hi:[0,1]
	v_pk_add_f32 v[4:5], v[6:7], v[4:5] op_sel:[0,1] op_sel_hi:[1,0]
	v_mov_b32_e32 v6, v14
	v_mov_b32_e32 v7, v5
	;; [unrolled: 1-line block ×3, first 2 shown]
	v_mul_u32_u24_e32 v0, 0x1c20, v131
	v_lshlrev_b32_e32 v1, 3, v132
	ds_write2_b64 v91, v[6:7], v[50:51] offset0:108 offset1:198
	v_add3_u32 v6, 0, v0, v1
	v_pk_add_f32 v[0:1], v[34:35], v[112:113]
	v_mov_b32_e32 v5, v15
	v_pk_add_f32 v[0:1], v[0:1], v[114:115]
	ds_write2_b64 v97, v[4:5], v[2:3] offset0:24 offset1:114
	ds_write_b64 v6, v[0:1]
	v_pk_add_f32 v[0:1], v[112:113], v[114:115]
	v_pk_add_f32 v[2:3], v[112:113], v[114:115] neg_lo:[0,1] neg_hi:[0,1]
	v_pk_fma_f32 v[0:1], v[0:1], 0.5, v[34:35] op_sel_hi:[1,0,1] neg_lo:[1,0,0] neg_hi:[1,0,0]
	v_pk_mul_f32 v[2:3], v[2:3], s[4:5] op_sel_hi:[1,0]
	v_lshl_add_u32 v34, v129, 3, 0
	v_pk_add_f32 v[4:5], v[0:1], v[2:3] op_sel:[0,1] op_sel_hi:[1,0] neg_lo:[0,1] neg_hi:[0,1]
	v_pk_add_f32 v[0:1], v[0:1], v[2:3] op_sel:[0,1] op_sel_hi:[1,0]
	v_mov_b32_e32 v2, v4
	v_mov_b32_e32 v3, v1
	;; [unrolled: 1-line block ×3, first 2 shown]
	v_pk_add_f32 v[4:5], v[36:37], v[108:109]
	ds_write_b64 v6, v[2:3] offset:2400
	v_pk_add_f32 v[4:5], v[4:5], v[110:111]
	ds_write_b64 v6, v[0:1] offset:4800
	ds_write_b64 v13, v[4:5] offset:14400
	v_pk_add_f32 v[4:5], v[108:109], v[110:111]
	v_pk_add_f32 v[6:7], v[108:109], v[110:111] neg_lo:[0,1] neg_hi:[0,1]
	v_pk_fma_f32 v[4:5], v[4:5], 0.5, v[36:37] op_sel_hi:[1,0,1] neg_lo:[1,0,0] neg_hi:[1,0,0]
	v_pk_mul_f32 v[6:7], v[6:7], s[4:5] op_sel_hi:[1,0]
	v_pk_add_f32 v[2:3], v[8:9], v[104:105]
	v_pk_add_f32 v[14:15], v[4:5], v[6:7] op_sel:[0,1] op_sel_hi:[1,0] neg_lo:[0,1] neg_hi:[0,1]
	v_pk_add_f32 v[4:5], v[4:5], v[6:7] op_sel:[0,1] op_sel_hi:[1,0]
	v_pk_add_f32 v[2:3], v[2:3], v[106:107]
	v_mov_b32_e32 v6, v14
	v_mov_b32_e32 v7, v5
	;; [unrolled: 1-line block ×3, first 2 shown]
	ds_write_b64 v13, v[6:7] offset:16800
	ds_write_b64 v13, v[4:5] offset:19200
	;; [unrolled: 1-line block ×3, first 2 shown]
	v_pk_add_f32 v[2:3], v[104:105], v[106:107]
	v_pk_add_f32 v[4:5], v[104:105], v[106:107] neg_lo:[0,1] neg_hi:[0,1]
	v_pk_fma_f32 v[2:3], v[2:3], 0.5, v[8:9] op_sel_hi:[1,0,1] neg_lo:[1,0,0] neg_hi:[1,0,0]
	v_pk_mul_f32 v[4:5], v[4:5], s[4:5] op_sel_hi:[1,0]
	v_pk_add_f32 v[0:1], v[10:11], v[84:85]
	v_pk_add_f32 v[6:7], v[2:3], v[4:5] op_sel:[0,1] op_sel_hi:[1,0] neg_lo:[0,1] neg_hi:[0,1]
	v_pk_add_f32 v[2:3], v[2:3], v[4:5] op_sel:[0,1] op_sel_hi:[1,0]
	v_pk_add_f32 v[0:1], v[0:1], v[86:87]
	v_mov_b32_e32 v4, v6
	v_mov_b32_e32 v5, v3
	v_mov_b32_e32 v3, v7
	v_lshl_add_u32 v35, v128, 3, 0
	ds_write_b64 v34, v[4:5] offset:16800
	ds_write_b64 v34, v[2:3] offset:19200
	;; [unrolled: 1-line block ×3, first 2 shown]
	v_pk_add_f32 v[0:1], v[84:85], v[86:87]
	v_pk_add_f32 v[2:3], v[84:85], v[86:87] neg_lo:[0,1] neg_hi:[0,1]
	v_pk_fma_f32 v[0:1], v[0:1], 0.5, v[10:11] op_sel_hi:[1,0,1] neg_lo:[1,0,0] neg_hi:[1,0,0]
	v_pk_mul_f32 v[2:3], v[2:3], s[4:5] op_sel_hi:[1,0]
	v_add_u32_e32 v8, 0x2d0, v22
	v_pk_add_f32 v[4:5], v[0:1], v[2:3] op_sel:[0,1] op_sel_hi:[1,0] neg_lo:[0,1] neg_hi:[0,1]
	v_pk_add_f32 v[0:1], v[0:1], v[2:3] op_sel:[0,1] op_sel_hi:[1,0]
	v_mov_b32_e32 v2, v4
	v_mov_b32_e32 v3, v1
	;; [unrolled: 1-line block ×3, first 2 shown]
	ds_write_b64 v35, v[0:1] offset:19200
	v_add_co_u32_e32 v0, vcc, s5, v28
	v_lshlrev_b32_e32 v4, 1, v133
	s_nop 0
	v_addc_co_u32_e32 v1, vcc, 0, v29, vcc
	v_mov_b32_e32 v5, v23
	ds_write_b64 v35, v[2:3] offset:16800
	s_waitcnt lgkmcnt(0)
	s_barrier
	global_load_dwordx4 v[0:3], v[0:1], off offset:3080
	v_lshl_add_u64 v[4:5], v[4:5], 3, s[8:9]
	v_add_co_u32_e32 v4, vcc, s5, v4
	v_mov_b32_e32 v9, v23
	s_nop 0
	v_addc_co_u32_e32 v5, vcc, 0, v5, vcc
	global_load_dwordx4 v[4:7], v[4:5], off offset:3080
	v_lshl_add_u64 v[8:9], v[8:9], 3, s[8:9]
	v_add_co_u32_e32 v8, vcc, s5, v8
	v_add_u32_e32 v22, 0x384, v22
	s_nop 0
	v_addc_co_u32_e32 v9, vcc, 0, v9, vcc
	global_load_dwordx4 v[8:11], v[8:9], off offset:3080
	v_lshl_add_u64 v[14:15], v[22:23], 3, s[8:9]
	v_add_co_u32_e32 v14, vcc, s5, v14
	v_lshlrev_b32_e32 v22, 1, v33
	s_nop 0
	v_addc_co_u32_e32 v15, vcc, 0, v15, vcc
	global_load_dwordx4 v[34:37], v[14:15], off offset:3080
	v_lshl_add_u64 v[14:15], v[22:23], 3, s[8:9]
	v_add_co_u32_e32 v14, vcc, s5, v14
	v_lshlrev_b32_e32 v22, 1, v32
	;; [unrolled: 6-line block ×4, first 2 shown]
	s_nop 0
	v_addc_co_u32_e32 v15, vcc, 0, v15, vcc
	global_load_dwordx4 v[46:49], v[14:15], off offset:3080
	v_lshl_add_u64 v[14:15], v[22:23], 3, s[8:9]
	v_add_co_u32_e32 v14, vcc, s5, v14
	s_nop 1
	v_addc_co_u32_e32 v15, vcc, 0, v15, vcc
	global_load_dwordx4 v[28:31], v[14:15], off offset:3080
	v_add_co_u32_e32 v14, vcc, s5, v24
	s_nop 1
	v_addc_co_u32_e32 v15, vcc, 0, v25, vcc
	global_load_dwordx4 v[50:53], v[14:15], off offset:3080
	;; [unrolled: 4-line block ×3, first 2 shown]
	ds_read2_b64 v[54:57], v100 offset0:56 offset1:146
	ds_read2_b64 v[58:61], v98 offset0:60 offset1:150
	s_waitcnt vmcnt(9) lgkmcnt(1)
	v_pk_mul_f32 v[14:15], v[54:55], v[0:1] op_sel:[0,1]
	s_nop 0
	v_pk_fma_f32 v[32:33], v[54:55], v[0:1], v[14:15] op_sel:[0,0,1] op_sel_hi:[1,1,0]
	v_pk_fma_f32 v[54:55], v[54:55], v[0:1], v[14:15] op_sel:[0,0,1] op_sel_hi:[1,0,0] neg_lo:[0,0,1] neg_hi:[0,0,1]
	v_mov_b32_e32 v0, v3
	s_waitcnt lgkmcnt(0)
	v_pk_mul_f32 v[0:1], v[58:59], v[0:1] op_sel_hi:[1,0]
	v_mov_b32_e32 v33, v55
	v_pk_fma_f32 v[62:63], v[58:59], v[2:3], v[0:1] op_sel:[0,0,1] op_sel_hi:[1,1,0]
	v_pk_fma_f32 v[58:59], v[58:59], v[2:3], v[0:1] op_sel:[0,0,1] op_sel_hi:[1,0,0] neg_lo:[0,0,1] neg_hi:[0,0,1]
	s_waitcnt vmcnt(8)
	v_pk_mul_f32 v[0:1], v[56:57], v[4:5] op_sel:[0,1]
	v_mov_b32_e32 v63, v59
	v_pk_fma_f32 v[64:65], v[56:57], v[4:5], v[0:1] op_sel:[0,0,1] op_sel_hi:[1,1,0]
	v_pk_fma_f32 v[56:57], v[56:57], v[4:5], v[0:1] op_sel:[0,0,1] op_sel_hi:[1,0,0] neg_lo:[0,0,1] neg_hi:[0,0,1]
	v_mov_b32_e32 v4, v7
	ds_read2_b64 v[0:3], v91 offset0:108 offset1:198
	v_pk_mul_f32 v[4:5], v[60:61], v[4:5] op_sel_hi:[1,0]
	v_mov_b32_e32 v65, v57
	v_pk_fma_f32 v[66:67], v[60:61], v[6:7], v[4:5] op_sel:[0,0,1] op_sel_hi:[1,1,0]
	v_pk_fma_f32 v[60:61], v[60:61], v[6:7], v[4:5] op_sel:[0,0,1] op_sel_hi:[1,0,0] neg_lo:[0,0,1] neg_hi:[0,0,1]
	ds_read2_b64 v[4:7], v19 offset0:112 offset1:202
	s_waitcnt vmcnt(7) lgkmcnt(1)
	v_pk_mul_f32 v[14:15], v[0:1], v[8:9] op_sel:[0,1]
	v_mov_b32_e32 v67, v61
	v_pk_fma_f32 v[68:69], v[0:1], v[8:9], v[14:15] op_sel:[0,0,1] op_sel_hi:[1,1,0]
	v_pk_fma_f32 v[70:71], v[0:1], v[8:9], v[14:15] op_sel:[0,0,1] op_sel_hi:[1,0,0] neg_lo:[0,0,1] neg_hi:[0,0,1]
	v_mov_b32_e32 v0, v11
	s_waitcnt lgkmcnt(0)
	v_pk_mul_f32 v[0:1], v[4:5], v[0:1] op_sel_hi:[1,0]
	v_mov_b32_e32 v69, v71
	v_pk_fma_f32 v[72:73], v[4:5], v[10:11], v[0:1] op_sel:[0,0,1] op_sel_hi:[1,1,0]
	v_pk_fma_f32 v[74:75], v[4:5], v[10:11], v[0:1] op_sel:[0,0,1] op_sel_hi:[1,0,0] neg_lo:[0,0,1] neg_hi:[0,0,1]
	s_waitcnt vmcnt(6)
	v_pk_mul_f32 v[0:1], v[2:3], v[34:35] op_sel:[0,1]
	v_mov_b32_e32 v4, v37
	v_pk_fma_f32 v[76:77], v[2:3], v[34:35], v[0:1] op_sel:[0,0,1] op_sel_hi:[1,1,0]
	v_pk_fma_f32 v[34:35], v[2:3], v[34:35], v[0:1] op_sel:[0,0,1] op_sel_hi:[1,0,0] neg_lo:[0,0,1] neg_hi:[0,0,1]
	ds_read2_b64 v[0:3], v93 offset0:160 offset1:250
	v_pk_mul_f32 v[4:5], v[6:7], v[4:5] op_sel_hi:[1,0]
	v_mov_b32_e32 v77, v35
	v_pk_fma_f32 v[78:79], v[6:7], v[36:37], v[4:5] op_sel:[0,0,1] op_sel_hi:[1,1,0]
	v_pk_fma_f32 v[36:37], v[6:7], v[36:37], v[4:5] op_sel:[0,0,1] op_sel_hi:[1,0,0] neg_lo:[0,0,1] neg_hi:[0,0,1]
	ds_read2_b64 v[4:7], v92 offset0:36 offset1:126
	s_waitcnt vmcnt(5) lgkmcnt(1)
	v_pk_mul_f32 v[8:9], v[0:1], v[38:39] op_sel:[0,1]
	v_mov_b32_e32 v73, v75
	v_pk_fma_f32 v[80:81], v[0:1], v[38:39], v[8:9] op_sel:[0,0,1] op_sel_hi:[1,1,0]
	v_pk_fma_f32 v[38:39], v[0:1], v[38:39], v[8:9] op_sel:[0,0,1] op_sel_hi:[1,0,0] neg_lo:[0,0,1] neg_hi:[0,0,1]
	v_mov_b32_e32 v0, v41
	s_waitcnt lgkmcnt(0)
	v_pk_mul_f32 v[0:1], v[4:5], v[0:1] op_sel_hi:[1,0]
	v_mov_b32_e32 v79, v37
	v_pk_fma_f32 v[82:83], v[4:5], v[40:41], v[0:1] op_sel:[0,0,1] op_sel_hi:[1,1,0]
	v_pk_fma_f32 v[40:41], v[4:5], v[40:41], v[0:1] op_sel:[0,0,1] op_sel_hi:[1,0,0] neg_lo:[0,0,1] neg_hi:[0,0,1]
	s_waitcnt vmcnt(4)
	v_pk_mul_f32 v[0:1], v[2:3], v[42:43] op_sel:[0,1]
	v_mov_b32_e32 v4, v45
	v_pk_fma_f32 v[84:85], v[2:3], v[42:43], v[0:1] op_sel:[0,0,1] op_sel_hi:[1,1,0]
	v_pk_fma_f32 v[42:43], v[2:3], v[42:43], v[0:1] op_sel:[0,0,1] op_sel_hi:[1,0,0] neg_lo:[0,0,1] neg_hi:[0,0,1]
	ds_read2_b64 v[0:3], v97 offset0:84 offset1:174
	v_pk_mul_f32 v[4:5], v[6:7], v[4:5] op_sel_hi:[1,0]
	v_mov_b32_e32 v81, v39
	v_pk_fma_f32 v[86:87], v[6:7], v[44:45], v[4:5] op_sel:[0,0,1] op_sel_hi:[1,1,0]
	v_pk_fma_f32 v[44:45], v[6:7], v[44:45], v[4:5] op_sel:[0,0,1] op_sel_hi:[1,0,0] neg_lo:[0,0,1] neg_hi:[0,0,1]
	ds_read2_b64 v[4:7], v95 offset0:88 offset1:178
	s_waitcnt vmcnt(3) lgkmcnt(1)
	v_pk_mul_f32 v[8:9], v[0:1], v[46:47] op_sel:[0,1]
	v_mov_b32_e32 v85, v43
	v_pk_fma_f32 v[88:89], v[0:1], v[46:47], v[8:9] op_sel:[0,0,1] op_sel_hi:[1,1,0]
	v_pk_fma_f32 v[46:47], v[0:1], v[46:47], v[8:9] op_sel:[0,0,1] op_sel_hi:[1,0,0] neg_lo:[0,0,1] neg_hi:[0,0,1]
	v_mov_b32_e32 v0, v49
	s_waitcnt lgkmcnt(0)
	v_pk_mul_f32 v[0:1], v[4:5], v[0:1] op_sel_hi:[1,0]
	v_mov_b32_e32 v83, v41
	v_pk_fma_f32 v[104:105], v[4:5], v[48:49], v[0:1] op_sel:[0,0,1] op_sel_hi:[1,1,0]
	v_pk_fma_f32 v[48:49], v[4:5], v[48:49], v[0:1] op_sel:[0,0,1] op_sel_hi:[1,0,0] neg_lo:[0,0,1] neg_hi:[0,0,1]
	s_waitcnt vmcnt(2)
	v_pk_mul_f32 v[0:1], v[2:3], v[28:29] op_sel:[0,1]
	ds_read_b64 v[4:5], v90 offset:7200
	v_pk_fma_f32 v[106:107], v[2:3], v[28:29], v[0:1] op_sel:[0,0,1] op_sel_hi:[1,1,0]
	v_pk_fma_f32 v[28:29], v[2:3], v[28:29], v[0:1] op_sel:[0,0,1] op_sel_hi:[1,0,0] neg_lo:[0,0,1] neg_hi:[0,0,1]
	v_mov_b32_e32 v0, v31
	v_pk_mul_f32 v[8:9], v[6:7], v[0:1] op_sel_hi:[1,0]
	ds_read2_b64 v[0:3], v101 offset0:8 offset1:98
	v_pk_fma_f32 v[108:109], v[6:7], v[30:31], v[8:9] op_sel:[0,0,1] op_sel_hi:[1,1,0]
	v_pk_fma_f32 v[30:31], v[6:7], v[30:31], v[8:9] op_sel:[0,0,1] op_sel_hi:[1,0,0] neg_lo:[0,0,1] neg_hi:[0,0,1]
	s_waitcnt vmcnt(1) lgkmcnt(1)
	v_pk_mul_f32 v[6:7], v[50:51], v[4:5] op_sel:[0,1]
	v_mov_b32_e32 v109, v31
	v_pk_fma_f32 v[110:111], v[50:51], v[4:5], v[6:7] op_sel:[0,0,1] op_sel_hi:[1,1,0]
	v_pk_fma_f32 v[4:5], v[50:51], v[4:5], v[6:7] op_sel:[0,0,1] op_sel_hi:[1,0,0] neg_lo:[1,0,0] neg_hi:[1,0,0]
	s_waitcnt lgkmcnt(0)
	v_pk_mul_f32 v[6:7], v[52:53], v[0:1] op_sel:[0,1]
	s_waitcnt vmcnt(0)
	v_mov_b32_e32 v4, v27
	v_pk_fma_f32 v[50:51], v[52:53], v[0:1], v[6:7] op_sel:[0,0,1] op_sel_hi:[1,1,0]
	v_pk_fma_f32 v[6:7], v[52:53], v[0:1], v[6:7] op_sel:[0,0,1] op_sel_hi:[1,0,0] neg_lo:[1,0,0] neg_hi:[1,0,0]
	ds_read2_b32 v[0:1], v12 offset0:188 offset1:189
	v_pk_mul_f32 v[8:9], v[2:3], v[4:5] op_sel_hi:[1,0]
	v_mov_b32_e32 v111, v5
	v_pk_fma_f32 v[52:53], v[2:3], v[26:27], v[8:9] op_sel:[0,0,1] op_sel_hi:[1,1,0]
	v_pk_fma_f32 v[8:9], v[2:3], v[26:27], v[8:9] op_sel:[0,0,1] op_sel_hi:[1,0,0] neg_lo:[0,0,1] neg_hi:[0,0,1]
	s_waitcnt lgkmcnt(0)
	v_mov_b32_e32 v2, v1
	v_pk_mul_f32 v[2:3], v[2:3], v[24:25] op_sel_hi:[0,1]
	v_pk_fma_f32 v[112:113], v[24:25], v[0:1], v[2:3] op_sel:[0,0,1] op_sel_hi:[1,1,0]
	v_pk_fma_f32 v[10:11], v[24:25], v[0:1], v[2:3] op_sel:[0,0,1] op_sel_hi:[1,0,0] neg_lo:[1,0,0] neg_hi:[1,0,0]
	ds_read2_b64 v[0:3], v90 offset1:90
	v_mov_b32_e32 v51, v7
	v_mov_b32_e32 v113, v11
	;; [unrolled: 1-line block ×4, first 2 shown]
	s_waitcnt lgkmcnt(0)
	v_pk_add_f32 v[4:5], v[0:1], v[110:111]
	v_mov_b32_e32 v89, v47
	v_pk_add_f32 v[114:115], v[4:5], v[50:51]
	v_pk_add_f32 v[4:5], v[2:3], v[112:113]
	v_mov_b32_e32 v105, v49
	v_pk_add_f32 v[116:117], v[4:5], v[52:53]
	ds_read2_b64 v[4:7], v103 offset0:52 offset1:142
	ds_read2_b64 v[8:11], v96 offset0:104 offset1:194
	;; [unrolled: 1-line block ×4, first 2 shown]
	s_waitcnt lgkmcnt(0)
	s_barrier
	ds_write2_b64 v90, v[114:115], v[116:117] offset1:90
	v_pk_add_f32 v[114:115], v[110:111], v[50:51]
	v_pk_add_f32 v[50:51], v[110:111], v[50:51] neg_lo:[0,1] neg_hi:[0,1]
	v_pk_fma_f32 v[0:1], v[114:115], 0.5, v[0:1] op_sel_hi:[1,0,1] neg_lo:[1,0,0] neg_hi:[1,0,0]
	v_pk_mul_f32 v[50:51], v[50:51], s[4:5] op_sel_hi:[1,0]
	v_pk_add_f32 v[114:115], v[112:113], v[52:53]
	v_pk_add_f32 v[110:111], v[0:1], v[50:51] op_sel:[0,1] op_sel_hi:[1,0] neg_lo:[0,1] neg_hi:[0,1]
	v_pk_add_f32 v[0:1], v[0:1], v[50:51] op_sel:[0,1] op_sel_hi:[1,0]
	v_pk_add_f32 v[50:51], v[112:113], v[52:53] neg_lo:[0,1] neg_hi:[0,1]
	v_pk_fma_f32 v[2:3], v[114:115], 0.5, v[2:3] op_sel_hi:[1,0,1] neg_lo:[1,0,0] neg_hi:[1,0,0]
	v_pk_mul_f32 v[50:51], v[50:51], s[4:5] op_sel_hi:[1,0]
	v_mov_b32_e32 v107, v29
	v_pk_add_f32 v[52:53], v[2:3], v[50:51] op_sel:[0,1] op_sel_hi:[1,0] neg_lo:[0,1] neg_hi:[0,1]
	v_pk_add_f32 v[2:3], v[2:3], v[50:51] op_sel:[0,1] op_sel_hi:[1,0]
	v_mov_b32_e32 v51, v1
	v_mov_b32_e32 v113, v3
	;; [unrolled: 1-line block ×4, first 2 shown]
	ds_write2_b64 v101, v[0:1], v[2:3] offset0:8 offset1:98
	v_pk_add_f32 v[0:1], v[4:5], v[32:33]
	v_pk_add_f32 v[2:3], v[6:7], v[64:65]
	;; [unrolled: 1-line block ×4, first 2 shown]
	ds_write2_b64 v103, v[0:1], v[2:3] offset0:52 offset1:142
	v_pk_add_f32 v[0:1], v[32:33], v[62:63]
	v_pk_add_f32 v[2:3], v[64:65], v[66:67]
	v_pk_fma_f32 v[0:1], v[0:1], 0.5, v[4:5] op_sel_hi:[1,0,1] neg_lo:[1,0,0] neg_hi:[1,0,0]
	v_pk_add_f32 v[4:5], v[32:33], v[62:63] neg_lo:[0,1] neg_hi:[0,1]
	v_pk_fma_f32 v[2:3], v[2:3], 0.5, v[6:7] op_sel_hi:[1,0,1] neg_lo:[1,0,0] neg_hi:[1,0,0]
	v_pk_mul_f32 v[4:5], v[4:5], s[4:5] op_sel_hi:[1,0]
	v_mov_b32_e32 v50, v110
	v_pk_add_f32 v[6:7], v[0:1], v[4:5] op_sel:[0,1] op_sel_hi:[1,0] neg_lo:[0,1] neg_hi:[0,1]
	v_pk_add_f32 v[0:1], v[0:1], v[4:5] op_sel:[0,1] op_sel_hi:[1,0]
	v_pk_add_f32 v[4:5], v[64:65], v[66:67] neg_lo:[0,1] neg_hi:[0,1]
	v_mov_b32_e32 v112, v52
	v_pk_mul_f32 v[4:5], v[4:5], s[4:5] op_sel_hi:[1,0]
	ds_write2_b64 v102, v[50:51], v[112:113] offset0:132 offset1:222
	v_pk_add_f32 v[32:33], v[2:3], v[4:5] op_sel:[0,1] op_sel_hi:[1,0] neg_lo:[0,1] neg_hi:[0,1]
	v_pk_add_f32 v[2:3], v[2:3], v[4:5] op_sel:[0,1] op_sel_hi:[1,0]
	v_mov_b32_e32 v5, v1
	v_mov_b32_e32 v51, v3
	;; [unrolled: 1-line block ×4, first 2 shown]
	ds_write2_b64 v98, v[0:1], v[2:3] offset0:60 offset1:150
	v_pk_add_f32 v[0:1], v[8:9], v[68:69]
	v_pk_add_f32 v[2:3], v[10:11], v[76:77]
	;; [unrolled: 1-line block ×4, first 2 shown]
	ds_write2_b64 v96, v[0:1], v[2:3] offset0:104 offset1:194
	v_pk_add_f32 v[2:3], v[68:69], v[72:73]
	v_mov_b32_e32 v4, v6
	v_pk_fma_f32 v[2:3], v[2:3], 0.5, v[8:9] op_sel_hi:[1,0,1] neg_lo:[1,0,0] neg_hi:[1,0,0]
	v_pk_add_f32 v[8:9], v[68:69], v[72:73] neg_lo:[0,1] neg_hi:[0,1]
	v_mov_b32_e32 v50, v32
	v_pk_mul_f32 v[8:9], v[8:9], s[4:5] op_sel_hi:[1,0]
	ds_write2_b64 v100, v[4:5], v[50:51] offset0:56 offset1:146
	v_pk_add_f32 v[30:31], v[2:3], v[8:9] op_sel:[0,1] op_sel_hi:[1,0] neg_lo:[0,1] neg_hi:[0,1]
	v_pk_add_f32 v[2:3], v[2:3], v[8:9] op_sel:[0,1] op_sel_hi:[1,0]
	v_mov_b32_e32 v8, v30
	v_mov_b32_e32 v9, v3
	;; [unrolled: 1-line block ×3, first 2 shown]
	v_pk_add_f32 v[30:31], v[76:77], v[78:79]
	v_pk_add_f32 v[4:5], v[12:13], v[80:81]
	v_pk_fma_f32 v[10:11], v[30:31], 0.5, v[10:11] op_sel_hi:[1,0,1] neg_lo:[1,0,0] neg_hi:[1,0,0]
	v_pk_add_f32 v[30:31], v[76:77], v[78:79] neg_lo:[0,1] neg_hi:[0,1]
	v_pk_add_f32 v[6:7], v[14:15], v[84:85]
	v_pk_mul_f32 v[30:31], v[30:31], s[4:5] op_sel_hi:[1,0]
	v_pk_add_f32 v[4:5], v[4:5], v[82:83]
	v_pk_add_f32 v[32:33], v[10:11], v[30:31] op_sel:[0,1] op_sel_hi:[1,0] neg_lo:[0,1] neg_hi:[0,1]
	v_pk_add_f32 v[10:11], v[10:11], v[30:31] op_sel:[0,1] op_sel_hi:[1,0]
	v_mov_b32_e32 v30, v32
	v_mov_b32_e32 v31, v11
	;; [unrolled: 1-line block ×3, first 2 shown]
	v_pk_add_f32 v[6:7], v[6:7], v[86:87]
	ds_write2_b64 v91, v[8:9], v[30:31] offset0:108 offset1:198
	ds_write2_b64 v19, v[2:3], v[10:11] offset0:112 offset1:202
	v_pk_add_f32 v[2:3], v[80:81], v[82:83]
	v_pk_add_f32 v[8:9], v[80:81], v[82:83] neg_lo:[0,1] neg_hi:[0,1]
	v_pk_fma_f32 v[2:3], v[2:3], 0.5, v[12:13] op_sel_hi:[1,0,1] neg_lo:[1,0,0] neg_hi:[1,0,0]
	v_pk_mul_f32 v[8:9], v[8:9], s[4:5] op_sel_hi:[1,0]
	ds_write2_b64 v94, v[4:5], v[6:7] offset0:28 offset1:118
	v_pk_add_f32 v[4:5], v[84:85], v[86:87]
	v_pk_add_f32 v[6:7], v[84:85], v[86:87] neg_lo:[0,1] neg_hi:[0,1]
	v_pk_add_f32 v[10:11], v[2:3], v[8:9] op_sel:[0,1] op_sel_hi:[1,0] neg_lo:[0,1] neg_hi:[0,1]
	v_pk_add_f32 v[2:3], v[2:3], v[8:9] op_sel:[0,1] op_sel_hi:[1,0]
	v_pk_fma_f32 v[4:5], v[4:5], 0.5, v[14:15] op_sel_hi:[1,0,1] neg_lo:[1,0,0] neg_hi:[1,0,0]
	v_pk_mul_f32 v[6:7], v[6:7], s[4:5] op_sel_hi:[1,0]
	v_mov_b32_e32 v8, v10
	v_mov_b32_e32 v9, v3
	;; [unrolled: 1-line block ×3, first 2 shown]
	v_pk_add_f32 v[10:11], v[4:5], v[6:7] op_sel:[0,1] op_sel_hi:[1,0] neg_lo:[0,1] neg_hi:[0,1]
	v_pk_add_f32 v[4:5], v[4:5], v[6:7] op_sel:[0,1] op_sel_hi:[1,0]
	v_pk_add_f32 v[28:29], v[24:25], v[88:89]
	v_mov_b32_e32 v7, v5
	v_mov_b32_e32 v5, v11
	ds_write2_b64 v92, v[2:3], v[4:5] offset0:36 offset1:126
	v_pk_add_f32 v[2:3], v[88:89], v[104:105]
	v_pk_add_f32 v[4:5], v[88:89], v[104:105] neg_lo:[0,1] neg_hi:[0,1]
	v_pk_add_f32 v[0:1], v[26:27], v[106:107]
	v_mov_b32_e32 v6, v10
	v_pk_fma_f32 v[2:3], v[2:3], 0.5, v[24:25] op_sel_hi:[1,0,1] neg_lo:[1,0,0] neg_hi:[1,0,0]
	v_pk_mul_f32 v[4:5], v[4:5], s[4:5] op_sel_hi:[1,0]
	v_pk_add_f32 v[28:29], v[28:29], v[104:105]
	v_pk_add_f32 v[0:1], v[0:1], v[108:109]
	ds_write2_b64 v93, v[8:9], v[6:7] offset0:160 offset1:250
	v_pk_add_f32 v[6:7], v[2:3], v[4:5] op_sel:[0,1] op_sel_hi:[1,0] neg_lo:[0,1] neg_hi:[0,1]
	v_pk_add_f32 v[2:3], v[2:3], v[4:5] op_sel:[0,1] op_sel_hi:[1,0]
	v_mov_b32_e32 v4, v6
	v_mov_b32_e32 v5, v3
	;; [unrolled: 1-line block ×3, first 2 shown]
	ds_write2_b64 v99, v[28:29], v[0:1] offset0:80 offset1:170
	v_pk_add_f32 v[0:1], v[106:107], v[108:109]
	v_pk_add_f32 v[6:7], v[106:107], v[108:109] neg_lo:[0,1] neg_hi:[0,1]
	v_pk_fma_f32 v[0:1], v[0:1], 0.5, v[26:27] op_sel_hi:[1,0,1] neg_lo:[1,0,0] neg_hi:[1,0,0]
	v_pk_mul_f32 v[6:7], v[6:7], s[4:5] op_sel_hi:[1,0]
	s_nop 0
	v_pk_add_f32 v[8:9], v[0:1], v[6:7] op_sel:[0,1] op_sel_hi:[1,0] neg_lo:[0,1] neg_hi:[0,1]
	v_pk_add_f32 v[0:1], v[0:1], v[6:7] op_sel:[0,1] op_sel_hi:[1,0]
	v_mov_b32_e32 v6, v8
	v_mov_b32_e32 v7, v1
	;; [unrolled: 1-line block ×3, first 2 shown]
	ds_write2_b64 v97, v[4:5], v[6:7] offset0:84 offset1:174
	ds_write2_b64 v95, v[2:3], v[0:1] offset0:88 offset1:178
	s_waitcnt lgkmcnt(0)
	s_barrier
	s_and_saveexec_b64 s[4:5], s[0:1]
	s_cbranch_execz .LBB0_21
; %bb.20:
	v_mul_lo_u32 v0, s3, v20
	v_mul_lo_u32 v1, s2, v21
	v_mad_u64_u32 v[4:5], s[0:1], s2, v20, 0
	v_lshl_add_u32 v10, v18, 3, 0
	v_add3_u32 v5, v5, v1, v0
	ds_read2_b64 v[0:3], v10 offset1:90
	v_lshl_add_u64 v[4:5], v[4:5], 3, s[6:7]
	v_mov_b32_e32 v19, v23
	v_lshl_add_u64 v[8:9], v[16:17], 3, v[4:5]
	v_lshl_add_u64 v[4:5], v[18:19], 3, v[8:9]
	s_waitcnt lgkmcnt(0)
	global_store_dwordx2 v[4:5], v[0:1], off
	v_add_u32_e32 v0, 0x400, v10
	ds_read2_b64 v[4:7], v0 offset0:52 offset1:142
	v_add_u32_e32 v22, 0x5a, v18
	v_lshl_add_u64 v[0:1], v[22:23], 3, v[8:9]
	v_add_u32_e32 v22, 0xb4, v18
	global_store_dwordx2 v[0:1], v[2:3], off
	v_lshl_add_u64 v[0:1], v[22:23], 3, v[8:9]
	s_waitcnt lgkmcnt(0)
	global_store_dwordx2 v[0:1], v[4:5], off
	v_add_u32_e32 v0, 0x800, v10
	ds_read2_b64 v[0:3], v0 offset0:104 offset1:194
	v_add_u32_e32 v22, 0x10e, v18
	v_lshl_add_u64 v[4:5], v[22:23], 3, v[8:9]
	v_add_u32_e32 v22, 0x168, v18
	global_store_dwordx2 v[4:5], v[6:7], off
	v_lshl_add_u64 v[4:5], v[22:23], 3, v[8:9]
	s_waitcnt lgkmcnt(0)
	global_store_dwordx2 v[4:5], v[0:1], off
	v_add_u32_e32 v0, 0x1000, v10
	ds_read2_b64 v[4:7], v0 offset0:28 offset1:118
	v_add_u32_e32 v22, 0x1c2, v18
	v_lshl_add_u64 v[0:1], v[22:23], 3, v[8:9]
	v_add_u32_e32 v22, 0x21c, v18
	global_store_dwordx2 v[0:1], v[2:3], off
	v_lshl_add_u64 v[0:1], v[22:23], 3, v[8:9]
	s_waitcnt lgkmcnt(0)
	global_store_dwordx2 v[0:1], v[4:5], off
	v_add_u32_e32 v0, 0x1400, v10
	ds_read2_b64 v[0:3], v0 offset0:80 offset1:170
	v_add_u32_e32 v22, 0x276, v18
	v_lshl_add_u64 v[4:5], v[22:23], 3, v[8:9]
	v_add_u32_e32 v22, 0x2d0, v18
	global_store_dwordx2 v[4:5], v[6:7], off
	v_lshl_add_u64 v[4:5], v[22:23], 3, v[8:9]
	s_waitcnt lgkmcnt(0)
	global_store_dwordx2 v[4:5], v[0:1], off
	v_add_u32_e32 v0, 0x1800, v10
	ds_read2_b64 v[4:7], v0 offset0:132 offset1:222
	v_add_u32_e32 v22, 0x32a, v18
	v_lshl_add_u64 v[0:1], v[22:23], 3, v[8:9]
	v_add_u32_e32 v22, 0x384, v18
	global_store_dwordx2 v[0:1], v[2:3], off
	v_lshl_add_u64 v[0:1], v[22:23], 3, v[8:9]
	s_waitcnt lgkmcnt(0)
	global_store_dwordx2 v[0:1], v[4:5], off
	v_add_u32_e32 v0, 0x2000, v10
	ds_read2_b64 v[0:3], v0 offset0:56 offset1:146
	v_add_u32_e32 v22, 0x3de, v18
	v_lshl_add_u64 v[4:5], v[22:23], 3, v[8:9]
	v_add_u32_e32 v22, 0x438, v18
	global_store_dwordx2 v[4:5], v[6:7], off
	v_lshl_add_u64 v[4:5], v[22:23], 3, v[8:9]
	s_waitcnt lgkmcnt(0)
	global_store_dwordx2 v[4:5], v[0:1], off
	v_add_u32_e32 v0, 0x2400, v10
	ds_read2_b64 v[4:7], v0 offset0:108 offset1:198
	v_add_u32_e32 v22, 0x492, v18
	v_lshl_add_u64 v[0:1], v[22:23], 3, v[8:9]
	v_add_u32_e32 v22, 0x4ec, v18
	global_store_dwordx2 v[0:1], v[2:3], off
	v_lshl_add_u64 v[0:1], v[22:23], 3, v[8:9]
	s_waitcnt lgkmcnt(0)
	global_store_dwordx2 v[0:1], v[4:5], off
	v_add_u32_e32 v0, 0x2800, v10
	ds_read2_b64 v[0:3], v0 offset0:160 offset1:250
	v_add_u32_e32 v22, 0x546, v18
	v_lshl_add_u64 v[4:5], v[22:23], 3, v[8:9]
	v_add_u32_e32 v22, 0x5a0, v18
	global_store_dwordx2 v[4:5], v[6:7], off
	v_lshl_add_u64 v[4:5], v[22:23], 3, v[8:9]
	s_waitcnt lgkmcnt(0)
	global_store_dwordx2 v[4:5], v[0:1], off
	v_add_u32_e32 v0, 0x3000, v10
	ds_read2_b64 v[4:7], v0 offset0:84 offset1:174
	v_add_u32_e32 v22, 0x5fa, v18
	v_lshl_add_u64 v[0:1], v[22:23], 3, v[8:9]
	v_add_u32_e32 v22, 0x654, v18
	global_store_dwordx2 v[0:1], v[2:3], off
	v_lshl_add_u64 v[0:1], v[22:23], 3, v[8:9]
	s_waitcnt lgkmcnt(0)
	global_store_dwordx2 v[0:1], v[4:5], off
	v_add_u32_e32 v0, 0x3800, v10
	ds_read2_b64 v[0:3], v0 offset0:8 offset1:98
	v_add_u32_e32 v22, 0x6ae, v18
	v_lshl_add_u64 v[4:5], v[22:23], 3, v[8:9]
	v_add_u32_e32 v22, 0x708, v18
	global_store_dwordx2 v[4:5], v[6:7], off
	v_lshl_add_u64 v[4:5], v[22:23], 3, v[8:9]
	s_waitcnt lgkmcnt(0)
	global_store_dwordx2 v[4:5], v[0:1], off
	v_add_u32_e32 v0, 0x3c00, v10
	ds_read2_b64 v[4:7], v0 offset0:60 offset1:150
	v_add_u32_e32 v22, 0x762, v18
	v_lshl_add_u64 v[0:1], v[22:23], 3, v[8:9]
	v_add_u32_e32 v22, 0x7bc, v18
	global_store_dwordx2 v[0:1], v[2:3], off
	v_lshl_add_u64 v[0:1], v[22:23], 3, v[8:9]
	s_waitcnt lgkmcnt(0)
	global_store_dwordx2 v[0:1], v[4:5], off
	v_add_u32_e32 v0, 0x4000, v10
	ds_read2_b64 v[0:3], v0 offset0:112 offset1:202
	v_add_u32_e32 v22, 0x816, v18
	v_lshl_add_u64 v[4:5], v[22:23], 3, v[8:9]
	v_add_u32_e32 v22, 0x870, v18
	global_store_dwordx2 v[4:5], v[6:7], off
	v_lshl_add_u64 v[4:5], v[22:23], 3, v[8:9]
	s_waitcnt lgkmcnt(0)
	global_store_dwordx2 v[4:5], v[0:1], off
	v_add_u32_e32 v0, 0x4800, v10
	ds_read2_b64 v[4:7], v0 offset0:36 offset1:126
	v_add_u32_e32 v22, 0x8ca, v18
	v_lshl_add_u64 v[0:1], v[22:23], 3, v[8:9]
	v_add_u32_e32 v22, 0x924, v18
	global_store_dwordx2 v[0:1], v[2:3], off
	v_lshl_add_u64 v[0:1], v[22:23], 3, v[8:9]
	s_waitcnt lgkmcnt(0)
	global_store_dwordx2 v[0:1], v[4:5], off
	v_add_u32_e32 v0, 0x4c00, v10
	ds_read2_b64 v[0:3], v0 offset0:88 offset1:178
	v_add_u32_e32 v22, 0x97e, v18
	v_lshl_add_u64 v[4:5], v[22:23], 3, v[8:9]
	v_add_u32_e32 v22, 0x9d8, v18
	global_store_dwordx2 v[4:5], v[6:7], off
	v_lshl_add_u64 v[4:5], v[22:23], 3, v[8:9]
	v_add_u32_e32 v22, 0xa32, v18
	s_waitcnt lgkmcnt(0)
	global_store_dwordx2 v[4:5], v[0:1], off
	v_lshl_add_u64 v[0:1], v[22:23], 3, v[8:9]
	global_store_dwordx2 v[0:1], v[2:3], off
.LBB0_21:
	s_endpgm
	.section	.rodata,"a",@progbits
	.p2align	6, 0x0
	.amdhsa_kernel fft_rtc_back_len2700_factors_3_10_10_3_3_wgs_90_tpt_90_halfLds_sp_op_CI_CI_unitstride_sbrr_C2R_dirReg
		.amdhsa_group_segment_fixed_size 0
		.amdhsa_private_segment_fixed_size 0
		.amdhsa_kernarg_size 104
		.amdhsa_user_sgpr_count 2
		.amdhsa_user_sgpr_dispatch_ptr 0
		.amdhsa_user_sgpr_queue_ptr 0
		.amdhsa_user_sgpr_kernarg_segment_ptr 1
		.amdhsa_user_sgpr_dispatch_id 0
		.amdhsa_user_sgpr_kernarg_preload_length 0
		.amdhsa_user_sgpr_kernarg_preload_offset 0
		.amdhsa_user_sgpr_private_segment_size 0
		.amdhsa_uses_dynamic_stack 0
		.amdhsa_enable_private_segment 0
		.amdhsa_system_sgpr_workgroup_id_x 1
		.amdhsa_system_sgpr_workgroup_id_y 0
		.amdhsa_system_sgpr_workgroup_id_z 0
		.amdhsa_system_sgpr_workgroup_info 0
		.amdhsa_system_vgpr_workitem_id 0
		.amdhsa_next_free_vgpr 160
		.amdhsa_next_free_sgpr 28
		.amdhsa_accum_offset 160
		.amdhsa_reserve_vcc 1
		.amdhsa_float_round_mode_32 0
		.amdhsa_float_round_mode_16_64 0
		.amdhsa_float_denorm_mode_32 3
		.amdhsa_float_denorm_mode_16_64 3
		.amdhsa_dx10_clamp 1
		.amdhsa_ieee_mode 1
		.amdhsa_fp16_overflow 0
		.amdhsa_tg_split 0
		.amdhsa_exception_fp_ieee_invalid_op 0
		.amdhsa_exception_fp_denorm_src 0
		.amdhsa_exception_fp_ieee_div_zero 0
		.amdhsa_exception_fp_ieee_overflow 0
		.amdhsa_exception_fp_ieee_underflow 0
		.amdhsa_exception_fp_ieee_inexact 0
		.amdhsa_exception_int_div_zero 0
	.end_amdhsa_kernel
	.text
.Lfunc_end0:
	.size	fft_rtc_back_len2700_factors_3_10_10_3_3_wgs_90_tpt_90_halfLds_sp_op_CI_CI_unitstride_sbrr_C2R_dirReg, .Lfunc_end0-fft_rtc_back_len2700_factors_3_10_10_3_3_wgs_90_tpt_90_halfLds_sp_op_CI_CI_unitstride_sbrr_C2R_dirReg
                                        ; -- End function
	.section	.AMDGPU.csdata,"",@progbits
; Kernel info:
; codeLenInByte = 18932
; NumSgprs: 34
; NumVgprs: 160
; NumAgprs: 0
; TotalNumVgprs: 160
; ScratchSize: 0
; MemoryBound: 0
; FloatMode: 240
; IeeeMode: 1
; LDSByteSize: 0 bytes/workgroup (compile time only)
; SGPRBlocks: 4
; VGPRBlocks: 19
; NumSGPRsForWavesPerEU: 34
; NumVGPRsForWavesPerEU: 160
; AccumOffset: 160
; Occupancy: 3
; WaveLimiterHint : 1
; COMPUTE_PGM_RSRC2:SCRATCH_EN: 0
; COMPUTE_PGM_RSRC2:USER_SGPR: 2
; COMPUTE_PGM_RSRC2:TRAP_HANDLER: 0
; COMPUTE_PGM_RSRC2:TGID_X_EN: 1
; COMPUTE_PGM_RSRC2:TGID_Y_EN: 0
; COMPUTE_PGM_RSRC2:TGID_Z_EN: 0
; COMPUTE_PGM_RSRC2:TIDIG_COMP_CNT: 0
; COMPUTE_PGM_RSRC3_GFX90A:ACCUM_OFFSET: 39
; COMPUTE_PGM_RSRC3_GFX90A:TG_SPLIT: 0
	.text
	.p2alignl 6, 3212836864
	.fill 256, 4, 3212836864
	.type	__hip_cuid_657dfa7d90b3ae16,@object ; @__hip_cuid_657dfa7d90b3ae16
	.section	.bss,"aw",@nobits
	.globl	__hip_cuid_657dfa7d90b3ae16
__hip_cuid_657dfa7d90b3ae16:
	.byte	0                               ; 0x0
	.size	__hip_cuid_657dfa7d90b3ae16, 1

	.ident	"AMD clang version 19.0.0git (https://github.com/RadeonOpenCompute/llvm-project roc-6.4.0 25133 c7fe45cf4b819c5991fe208aaa96edf142730f1d)"
	.section	".note.GNU-stack","",@progbits
	.addrsig
	.addrsig_sym __hip_cuid_657dfa7d90b3ae16
	.amdgpu_metadata
---
amdhsa.kernels:
  - .agpr_count:     0
    .args:
      - .actual_access:  read_only
        .address_space:  global
        .offset:         0
        .size:           8
        .value_kind:     global_buffer
      - .offset:         8
        .size:           8
        .value_kind:     by_value
      - .actual_access:  read_only
        .address_space:  global
        .offset:         16
        .size:           8
        .value_kind:     global_buffer
      - .actual_access:  read_only
        .address_space:  global
        .offset:         24
        .size:           8
        .value_kind:     global_buffer
      - .actual_access:  read_only
        .address_space:  global
        .offset:         32
        .size:           8
        .value_kind:     global_buffer
      - .offset:         40
        .size:           8
        .value_kind:     by_value
      - .actual_access:  read_only
        .address_space:  global
        .offset:         48
        .size:           8
        .value_kind:     global_buffer
      - .actual_access:  read_only
        .address_space:  global
        .offset:         56
        .size:           8
        .value_kind:     global_buffer
      - .offset:         64
        .size:           4
        .value_kind:     by_value
      - .actual_access:  read_only
        .address_space:  global
        .offset:         72
        .size:           8
        .value_kind:     global_buffer
      - .actual_access:  read_only
        .address_space:  global
        .offset:         80
        .size:           8
        .value_kind:     global_buffer
      - .actual_access:  read_only
        .address_space:  global
        .offset:         88
        .size:           8
        .value_kind:     global_buffer
      - .actual_access:  write_only
        .address_space:  global
        .offset:         96
        .size:           8
        .value_kind:     global_buffer
    .group_segment_fixed_size: 0
    .kernarg_segment_align: 8
    .kernarg_segment_size: 104
    .language:       OpenCL C
    .language_version:
      - 2
      - 0
    .max_flat_workgroup_size: 90
    .name:           fft_rtc_back_len2700_factors_3_10_10_3_3_wgs_90_tpt_90_halfLds_sp_op_CI_CI_unitstride_sbrr_C2R_dirReg
    .private_segment_fixed_size: 0
    .sgpr_count:     34
    .sgpr_spill_count: 0
    .symbol:         fft_rtc_back_len2700_factors_3_10_10_3_3_wgs_90_tpt_90_halfLds_sp_op_CI_CI_unitstride_sbrr_C2R_dirReg.kd
    .uniform_work_group_size: 1
    .uses_dynamic_stack: false
    .vgpr_count:     160
    .vgpr_spill_count: 0
    .wavefront_size: 64
amdhsa.target:   amdgcn-amd-amdhsa--gfx950
amdhsa.version:
  - 1
  - 2
...

	.end_amdgpu_metadata
